;; amdgpu-corpus repo=ROCm/rocFFT kind=compiled arch=gfx906 opt=O3
	.text
	.amdgcn_target "amdgcn-amd-amdhsa--gfx906"
	.amdhsa_code_object_version 6
	.protected	bluestein_single_back_len1734_dim1_sp_op_CI_CI ; -- Begin function bluestein_single_back_len1734_dim1_sp_op_CI_CI
	.globl	bluestein_single_back_len1734_dim1_sp_op_CI_CI
	.p2align	8
	.type	bluestein_single_back_len1734_dim1_sp_op_CI_CI,@function
bluestein_single_back_len1734_dim1_sp_op_CI_CI: ; @bluestein_single_back_len1734_dim1_sp_op_CI_CI
; %bb.0:
	s_load_dwordx4 s[0:3], s[4:5], 0x28
	v_mul_u32_u24_e32 v1, 0x283, v0
	v_add_u32_sdwa v98, s6, v1 dst_sel:DWORD dst_unused:UNUSED_PAD src0_sel:DWORD src1_sel:WORD_1
	v_mov_b32_e32 v99, 0
	s_waitcnt lgkmcnt(0)
	v_cmp_gt_u64_e32 vcc, s[0:1], v[98:99]
	s_and_saveexec_b64 s[0:1], vcc
	s_cbranch_execz .LBB0_10
; %bb.1:
	s_load_dwordx4 s[8:11], s[4:5], 0x18
	s_load_dwordx4 s[12:15], s[4:5], 0x0
	s_movk_i32 s0, 0x66
	v_mul_lo_u16_sdwa v1, v1, s0 dst_sel:DWORD dst_unused:UNUSED_PAD src0_sel:WORD_1 src1_sel:DWORD
	v_sub_u16_e32 v134, v0, v1
	s_waitcnt lgkmcnt(0)
	s_load_dwordx4 s[16:19], s[8:9], 0x0
	v_lshlrev_b32_e32 v133, 3, v134
	s_load_dwordx4 s[8:11], s[10:11], 0x0
	s_movk_i32 s6, 0x1000
	v_add_u32_e32 v38, 0x800, v133
	s_waitcnt lgkmcnt(0)
	v_mad_u64_u32 v[0:1], s[0:1], s18, v98, 0
	v_mad_u64_u32 v[2:3], s[0:1], s16, v134, 0
	v_add_u32_e32 v39, 0x1000, v133
	v_add_u32_e32 v40, 0x1800, v133
	v_mad_u64_u32 v[4:5], s[0:1], s19, v98, v[1:2]
	v_add_u32_e32 v34, 0x2400, v133
	s_mov_b32 s7, 0xbe8c1d8e
	v_mad_u64_u32 v[5:6], s[0:1], s17, v134, v[3:4]
	v_mov_b32_e32 v1, v4
	v_lshlrev_b64 v[0:1], 3, v[0:1]
	v_mov_b32_e32 v6, s3
	v_mov_b32_e32 v3, v5
	v_add_co_u32_e32 v4, vcc, s2, v0
	v_addc_co_u32_e32 v5, vcc, v6, v1, vcc
	v_lshlrev_b64 v[0:1], 3, v[2:3]
	v_mov_b32_e32 v2, s13
	v_add_co_u32_e32 v0, vcc, v4, v0
	v_addc_co_u32_e32 v1, vcc, v5, v1, vcc
	v_add_co_u32_e32 v135, vcc, s12, v133
	v_addc_co_u32_e64 v32, s[0:1], 0, v2, vcc
	s_mul_i32 s0, s17, 0x330
	s_mul_hi_u32 s2, s16, 0x330
	s_add_i32 s2, s2, s0
	s_mul_i32 s3, s16, 0x330
	v_mov_b32_e32 v3, s2
	v_add_co_u32_e64 v2, s[0:1], s3, v0
	v_addc_co_u32_e64 v3, s[0:1], v1, v3, s[0:1]
	v_mov_b32_e32 v5, s2
	v_add_co_u32_e64 v4, s[0:1], s3, v2
	v_addc_co_u32_e64 v5, s[0:1], v3, v5, s[0:1]
	;; [unrolled: 3-line block ×3, first 2 shown]
	global_load_dwordx2 v[8:9], v[0:1], off
	global_load_dwordx2 v[10:11], v[2:3], off
	;; [unrolled: 1-line block ×4, first 2 shown]
	global_load_dwordx2 v[113:114], v133, s[12:13]
	global_load_dwordx2 v[111:112], v133, s[12:13] offset:816
	global_load_dwordx2 v[109:110], v133, s[12:13] offset:1632
	;; [unrolled: 1-line block ×3, first 2 shown]
	v_mov_b32_e32 v1, s2
	v_add_co_u32_e64 v0, s[0:1], s3, v6
	v_addc_co_u32_e64 v1, s[0:1], v7, v1, s[0:1]
	global_load_dwordx2 v[2:3], v[0:1], off
	v_mov_b32_e32 v4, s2
	v_add_co_u32_e64 v0, s[0:1], s3, v0
	v_addc_co_u32_e64 v1, s[0:1], v1, v4, s[0:1]
	global_load_dwordx2 v[4:5], v[0:1], off
	global_load_dwordx2 v[105:106], v133, s[12:13] offset:3264
	global_load_dwordx2 v[99:100], v133, s[12:13] offset:4080
	v_mov_b32_e32 v6, s2
	v_add_co_u32_e64 v0, s[0:1], s3, v0
	v_addc_co_u32_e64 v1, s[0:1], v1, v6, s[0:1]
	v_add_co_u32_e64 v16, s[0:1], s6, v135
	v_addc_co_u32_e64 v17, s[0:1], 0, v32, s[0:1]
	global_load_dwordx2 v[6:7], v[0:1], off
	v_mov_b32_e32 v18, s2
	v_add_co_u32_e64 v0, s[0:1], s3, v0
	v_addc_co_u32_e64 v1, s[0:1], v1, v18, s[0:1]
	global_load_dwordx2 v[18:19], v[0:1], off
	v_mov_b32_e32 v20, s2
	;; [unrolled: 4-line block ×3, first 2 shown]
	v_add_co_u32_e64 v0, s[0:1], s3, v0
	v_addc_co_u32_e64 v1, s[0:1], v1, v22, s[0:1]
	global_load_dwordx2 v[22:23], v[0:1], off
	global_load_dwordx2 v[107:108], v[16:17], off offset:800
	global_load_dwordx2 v[101:102], v[16:17], off offset:1616
	;; [unrolled: 1-line block ×4, first 2 shown]
	v_mov_b32_e32 v24, s2
	v_add_co_u32_e64 v0, s[0:1], s3, v0
	v_addc_co_u32_e64 v1, s[0:1], v1, v24, s[0:1]
	global_load_dwordx2 v[24:25], v[0:1], off
	global_load_dwordx2 v[90:91], v[16:17], off offset:4064
	v_mov_b32_e32 v16, s2
	v_add_co_u32_e64 v0, s[0:1], s3, v0
	v_addc_co_u32_e64 v1, s[0:1], v1, v16, s[0:1]
	s_movk_i32 s0, 0x2000
	v_add_co_u32_e64 v26, s[0:1], s0, v135
	v_addc_co_u32_e64 v27, s[0:1], 0, v32, s[0:1]
	global_load_dwordx2 v[16:17], v[0:1], off
	v_mov_b32_e32 v28, s2
	v_add_co_u32_e64 v0, s[0:1], s3, v0
	v_addc_co_u32_e64 v1, s[0:1], v1, v28, s[0:1]
	global_load_dwordx2 v[28:29], v[0:1], off
	v_mov_b32_e32 v30, s2
	;; [unrolled: 4-line block ×3, first 2 shown]
	v_add_co_u32_e64 v0, s[0:1], s3, v0
	v_addc_co_u32_e64 v1, s[0:1], v1, v33, s[0:1]
	global_load_dwordx2 v[88:89], v[26:27], off offset:784
	global_load_dwordx2 v[35:36], v[0:1], off
	global_load_dwordx2 v[94:95], v[26:27], off offset:1600
	global_load_dwordx2 v[86:87], v[26:27], off offset:2416
	;; [unrolled: 1-line block ×3, first 2 shown]
	v_add_co_u32_e64 v0, s[0:1], s3, v0
	v_addc_co_u32_e64 v1, s[0:1], v1, v33, s[0:1]
	global_load_dwordx2 v[41:42], v[0:1], off
	global_load_dwordx2 v[82:83], v[26:27], off offset:4048
	v_mov_b32_e32 v26, s2
	v_add_co_u32_e64 v0, s[0:1], s3, v0
	v_addc_co_u32_e64 v1, s[0:1], v1, v26, s[0:1]
	s_movk_i32 s0, 0x3000
	v_add_co_u32_e64 v26, s[0:1], s0, v135
	v_addc_co_u32_e64 v27, s[0:1], 0, v32, s[0:1]
	global_load_dwordx2 v[0:1], v[0:1], off
	v_add_u32_e32 v32, 0x400, v133
	global_load_dwordx2 v[80:81], v[26:27], off offset:768
	s_waitcnt vmcnt(29)
	v_mul_f32_e32 v26, v9, v114
	v_fmac_f32_e32 v26, v8, v113
	v_mul_f32_e32 v8, v8, v114
	v_fma_f32 v27, v9, v113, -v8
	s_waitcnt vmcnt(28)
	v_mul_f32_e32 v8, v11, v112
	v_mul_f32_e32 v9, v10, v112
	v_fmac_f32_e32 v8, v10, v111
	v_fma_f32 v9, v11, v111, -v9
	ds_write2_b64 v133, v[26:27], v[8:9] offset1:102
	s_waitcnt vmcnt(27)
	v_mul_f32_e32 v8, v13, v110
	v_mul_f32_e32 v9, v12, v110
	s_waitcnt vmcnt(26)
	v_mul_f32_e32 v10, v15, v104
	v_mul_f32_e32 v11, v14, v104
	v_fmac_f32_e32 v8, v12, v109
	v_fma_f32 v9, v13, v109, -v9
	v_fmac_f32_e32 v10, v14, v103
	v_fma_f32 v11, v15, v103, -v11
	ds_write2_b64 v32, v[8:9], v[10:11] offset0:76 offset1:178
	s_waitcnt vmcnt(23)
	v_mul_f32_e32 v8, v3, v106
	v_fmac_f32_e32 v8, v2, v105
	v_mul_f32_e32 v2, v2, v106
	v_fma_f32 v9, v3, v105, -v2
	s_waitcnt vmcnt(22)
	v_mul_f32_e32 v2, v5, v100
	v_mul_f32_e32 v3, v4, v100
	v_fmac_f32_e32 v2, v4, v99
	v_fma_f32 v3, v5, v99, -v3
	ds_write2_b64 v38, v[8:9], v[2:3] offset0:152 offset1:254
	s_waitcnt vmcnt(17)
	v_mul_f32_e32 v2, v7, v108
	v_mul_f32_e32 v3, v6, v108
	s_waitcnt vmcnt(16)
	v_mul_f32_e32 v4, v19, v102
	v_mul_f32_e32 v5, v18, v102
	v_fmac_f32_e32 v2, v6, v107
	v_fma_f32 v3, v7, v107, -v3
	v_fmac_f32_e32 v4, v18, v101
	v_fma_f32 v5, v19, v101, -v5
	ds_write2_b64 v39, v[2:3], v[4:5] offset0:100 offset1:202
	s_waitcnt vmcnt(15)
	v_mul_f32_e32 v2, v21, v97
	v_mul_f32_e32 v3, v20, v97
	s_waitcnt vmcnt(14)
	v_mul_f32_e32 v4, v23, v93
	v_mul_f32_e32 v5, v22, v93
	v_fmac_f32_e32 v2, v20, v96
	v_fma_f32 v3, v21, v96, -v3
	v_fmac_f32_e32 v4, v22, v92
	v_fma_f32 v5, v23, v92, -v5
	ds_write2_b64 v40, v[2:3], v[4:5] offset0:48 offset1:150
	s_waitcnt vmcnt(12)
	v_mul_f32_e32 v2, v25, v91
	v_mul_f32_e32 v3, v24, v91
	v_fmac_f32_e32 v2, v24, v90
	v_fma_f32 v3, v25, v90, -v3
	v_add_u32_e32 v33, 0x1c00, v133
	s_mov_b32 s2, 0x3f6eb680
	s_mov_b32 s1, 0x3f3d2fb0
	;; [unrolled: 1-line block ×7, first 2 shown]
	s_movk_i32 s18, 0xf1
	s_load_dwordx2 s[4:5], s[4:5], 0x38
	s_waitcnt vmcnt(8)
	v_mul_f32_e32 v4, v17, v89
	v_mul_f32_e32 v5, v16, v89
	v_fmac_f32_e32 v4, v16, v88
	v_fma_f32 v5, v17, v88, -v5
	ds_write2_b64 v33, v[2:3], v[4:5] offset0:124 offset1:226
	s_waitcnt vmcnt(6)
	v_mul_f32_e32 v2, v29, v95
	v_mul_f32_e32 v3, v28, v95
	s_waitcnt vmcnt(5)
	v_mul_f32_e32 v4, v31, v87
	v_mul_f32_e32 v5, v30, v87
	v_fmac_f32_e32 v2, v28, v94
	v_fma_f32 v3, v29, v94, -v3
	v_fmac_f32_e32 v4, v30, v86
	v_fma_f32 v5, v31, v86, -v5
	ds_write2_b64 v34, v[2:3], v[4:5] offset0:72 offset1:174
	s_waitcnt vmcnt(4)
	v_mul_f32_e32 v2, v36, v85
	v_mul_f32_e32 v3, v35, v85
	s_waitcnt vmcnt(2)
	v_mul_f32_e32 v4, v42, v83
	v_mul_f32_e32 v5, v41, v83
	v_fmac_f32_e32 v2, v35, v84
	v_fma_f32 v3, v36, v84, -v3
	v_fmac_f32_e32 v4, v41, v82
	v_fma_f32 v5, v42, v82, -v5
	v_add_u32_e32 v35, 0x2800, v133
	ds_write2_b64 v35, v[2:3], v[4:5] offset0:148 offset1:250
	s_waitcnt vmcnt(0)
	v_mul_f32_e32 v2, v1, v81
	v_fmac_f32_e32 v2, v0, v80
	v_mul_f32_e32 v0, v0, v81
	v_fma_f32 v3, v1, v80, -v0
	ds_write_b64 v133, v[2:3] offset:13056
	s_waitcnt lgkmcnt(0)
	s_barrier
	ds_read2_b64 v[14:17], v133 offset1:102
	ds_read2_b64 v[18:21], v32 offset0:76 offset1:178
	ds_read2_b64 v[22:25], v38 offset0:152 offset1:254
	;; [unrolled: 1-line block ×7, first 2 shown]
	ds_read_b64 v[30:31], v133 offset:13056
	s_waitcnt lgkmcnt(8)
	v_add_f32_e32 v12, v14, v16
	v_add_f32_e32 v13, v15, v17
	s_waitcnt lgkmcnt(7)
	v_add_f32_e32 v12, v12, v18
	v_add_f32_e32 v13, v13, v19
	v_add_f32_e32 v12, v12, v20
	v_add_f32_e32 v13, v13, v21
	s_waitcnt lgkmcnt(6)
	v_add_f32_e32 v12, v12, v22
	v_add_f32_e32 v13, v13, v23
	;; [unrolled: 5-line block ×7, first 2 shown]
	v_add_f32_e32 v12, v12, v43
	s_waitcnt lgkmcnt(0)
	v_add_f32_e32 v36, v30, v16
	v_add_f32_e32 v37, v31, v17
	v_sub_f32_e32 v16, v16, v30
	v_sub_f32_e32 v17, v17, v31
	v_add_f32_e32 v13, v13, v44
	v_add_f32_e32 v12, v12, v30
	v_mul_f32_e32 v30, 0xbeb8f4ab, v17
	v_mul_f32_e32 v45, 0xbeb8f4ab, v16
	;; [unrolled: 1-line block ×16, first 2 shown]
	v_add_f32_e32 v13, v13, v31
	v_fma_f32 v31, v36, s2, -v30
	v_mov_b32_e32 v46, v45
	v_fmac_f32_e32 v30, 0x3f6eb680, v36
	v_fma_f32 v48, v36, s1, -v47
	v_mov_b32_e32 v50, v49
	v_fmac_f32_e32 v47, 0x3f3d2fb0, v36
	;; [unrolled: 3-line block ×8, first 2 shown]
	v_add_f32_e32 v31, v14, v31
	v_fmac_f32_e32 v46, 0x3f6eb680, v37
	v_add_f32_e32 v30, v14, v30
	v_fma_f32 v45, v37, s2, -v45
	v_add_f32_e32 v48, v14, v48
	v_fmac_f32_e32 v50, 0x3f3d2fb0, v37
	v_add_f32_e32 v47, v14, v47
	v_fma_f32 v49, v37, s1, -v49
	;; [unrolled: 4-line block ×8, first 2 shown]
	v_add_f32_e32 v17, v44, v19
	v_sub_f32_e32 v19, v19, v44
	v_add_f32_e32 v46, v15, v46
	v_add_f32_e32 v45, v15, v45
	;; [unrolled: 1-line block ×17, first 2 shown]
	v_mul_f32_e32 v36, 0xbf2c7751, v19
	v_sub_f32_e32 v18, v18, v43
	v_fma_f32 v37, v16, s1, -v36
	v_add_f32_e32 v31, v37, v31
	v_mul_f32_e32 v37, 0xbf2c7751, v18
	v_fmac_f32_e32 v36, 0x3f3d2fb0, v16
	v_mov_b32_e32 v43, v37
	v_add_f32_e32 v30, v36, v30
	v_fma_f32 v36, v17, s1, -v37
	v_mul_f32_e32 v37, 0xbf7ee86f, v19
	v_fma_f32 v44, v16, s0, -v37
	v_fmac_f32_e32 v37, 0x3dbcf732, v16
	v_fmac_f32_e32 v43, 0x3f3d2fb0, v17
	v_add_f32_e32 v36, v36, v45
	v_mul_f32_e32 v45, 0xbf7ee86f, v18
	v_add_f32_e32 v37, v37, v47
	v_mul_f32_e32 v47, 0xbf4c4adb, v19
	v_add_f32_e32 v43, v43, v46
	v_add_f32_e32 v44, v44, v48
	v_mov_b32_e32 v46, v45
	v_fma_f32 v45, v17, s0, -v45
	v_fma_f32 v48, v16, s12, -v47
	v_fmac_f32_e32 v47, 0xbf1a4643, v16
	v_fmac_f32_e32 v46, 0x3dbcf732, v17
	v_add_f32_e32 v45, v45, v49
	v_mul_f32_e32 v49, 0xbf4c4adb, v18
	v_add_f32_e32 v47, v47, v51
	v_mul_f32_e32 v51, 0xbe3c28d5, v19
	v_add_f32_e32 v46, v46, v50
	v_add_f32_e32 v48, v48, v52
	v_mov_b32_e32 v50, v49
	v_fma_f32 v49, v17, s12, -v49
	;; [unrolled: 11-line block ×5, first 2 shown]
	v_fma_f32 v64, v16, s3, -v63
	v_fmac_f32_e32 v63, 0x3ee437d1, v16
	v_mul_f32_e32 v19, 0x3eb8f4ab, v19
	v_add_f32_e32 v61, v61, v65
	v_mul_f32_e32 v65, 0x3f65296c, v18
	v_add_f32_e32 v63, v63, v67
	v_fma_f32 v67, v16, s2, -v19
	v_mul_f32_e32 v18, 0x3eb8f4ab, v18
	v_fmac_f32_e32 v19, 0x3f6eb680, v16
	v_fmac_f32_e32 v62, 0xbe8c1d8e, v17
	v_add_f32_e32 v14, v19, v14
	v_fma_f32 v16, v17, s2, -v18
	v_sub_f32_e32 v19, v21, v42
	v_add_f32_e32 v62, v62, v66
	v_add_f32_e32 v64, v64, v68
	v_mov_b32_e32 v66, v65
	v_mov_b32_e32 v68, v18
	v_add_f32_e32 v15, v16, v15
	v_add_f32_e32 v16, v41, v20
	v_sub_f32_e32 v18, v20, v41
	v_mul_f32_e32 v20, 0xbf65296c, v19
	v_fmac_f32_e32 v66, 0x3ee437d1, v17
	v_fma_f32 v65, v17, s3, -v65
	v_fmac_f32_e32 v68, 0x3f6eb680, v17
	v_add_f32_e32 v17, v42, v21
	v_fma_f32 v21, v16, s3, -v20
	v_add_f32_e32 v21, v21, v31
	v_mul_f32_e32 v31, 0xbf65296c, v18
	v_fmac_f32_e32 v20, 0x3ee437d1, v16
	v_mov_b32_e32 v41, v31
	v_add_f32_e32 v20, v20, v30
	v_fma_f32 v30, v17, s3, -v31
	v_mul_f32_e32 v31, 0xbf4c4adb, v19
	v_fmac_f32_e32 v41, 0x3ee437d1, v17
	v_add_f32_e32 v30, v30, v36
	v_fma_f32 v36, v16, s12, -v31
	v_mul_f32_e32 v42, 0xbf4c4adb, v18
	v_fmac_f32_e32 v31, 0xbf1a4643, v16
	v_add_f32_e32 v41, v41, v43
	v_mov_b32_e32 v43, v42
	v_add_f32_e32 v31, v31, v37
	v_fma_f32 v37, v17, s12, -v42
	v_mul_f32_e32 v42, 0x3e3c28d5, v19
	v_add_f32_e32 v36, v36, v44
	v_fma_f32 v44, v16, s16, -v42
	v_fmac_f32_e32 v42, 0xbf7ba420, v16
	v_fmac_f32_e32 v43, 0xbf1a4643, v17
	v_add_f32_e32 v37, v37, v45
	v_mul_f32_e32 v45, 0x3e3c28d5, v18
	v_add_f32_e32 v42, v42, v47
	v_mul_f32_e32 v47, 0x3f763a35, v19
	v_add_f32_e32 v43, v43, v46
	v_add_f32_e32 v44, v44, v48
	v_mov_b32_e32 v46, v45
	v_fma_f32 v45, v17, s16, -v45
	v_fma_f32 v48, v16, s7, -v47
	v_fmac_f32_e32 v47, 0xbe8c1d8e, v16
	v_fmac_f32_e32 v46, 0xbf7ba420, v17
	v_add_f32_e32 v45, v45, v49
	v_mul_f32_e32 v49, 0x3f763a35, v18
	v_add_f32_e32 v47, v47, v51
	v_mul_f32_e32 v51, 0x3f2c7751, v19
	v_add_f32_e32 v46, v46, v50
	v_add_f32_e32 v48, v48, v52
	v_mov_b32_e32 v50, v49
	v_fma_f32 v49, v17, s7, -v49
	;; [unrolled: 11-line block ×4, first 2 shown]
	v_fma_f32 v60, v16, s0, -v59
	v_fmac_f32_e32 v59, 0x3dbcf732, v16
	v_mul_f32_e32 v19, 0xbf06c442, v19
	v_add_f32_e32 v57, v57, v61
	v_mul_f32_e32 v61, 0xbf7ee86f, v18
	v_add_f32_e32 v59, v59, v63
	v_fma_f32 v63, v16, s17, -v19
	v_mul_f32_e32 v18, 0xbf06c442, v18
	v_fmac_f32_e32 v19, 0xbf59a7d5, v16
	v_fmac_f32_e32 v58, 0x3f6eb680, v17
	v_add_f32_e32 v14, v19, v14
	v_fma_f32 v16, v17, s17, -v18
	v_sub_f32_e32 v19, v23, v29
	v_add_f32_e32 v58, v58, v62
	v_add_f32_e32 v60, v60, v64
	v_mov_b32_e32 v62, v61
	v_mov_b32_e32 v64, v18
	v_add_f32_e32 v15, v16, v15
	v_add_f32_e32 v16, v28, v22
	v_sub_f32_e32 v18, v22, v28
	v_mul_f32_e32 v22, 0xbf7ee86f, v19
	v_fmac_f32_e32 v62, 0x3dbcf732, v17
	v_fma_f32 v61, v17, s0, -v61
	v_fmac_f32_e32 v64, 0xbf59a7d5, v17
	v_add_f32_e32 v17, v29, v23
	v_fma_f32 v23, v16, s0, -v22
	v_add_f32_e32 v21, v23, v21
	v_mul_f32_e32 v23, 0xbf7ee86f, v18
	v_fmac_f32_e32 v22, 0x3dbcf732, v16
	v_mov_b32_e32 v28, v23
	v_add_f32_e32 v20, v22, v20
	v_fma_f32 v22, v17, s0, -v23
	v_mul_f32_e32 v23, 0xbe3c28d5, v19
	v_add_f32_e32 v22, v22, v30
	v_fma_f32 v29, v16, s16, -v23
	v_mul_f32_e32 v30, 0xbe3c28d5, v18
	v_fmac_f32_e32 v23, 0xbf7ba420, v16
	v_add_f32_e32 v29, v29, v36
	v_mov_b32_e32 v36, v30
	v_add_f32_e32 v23, v23, v31
	v_fma_f32 v30, v17, s16, -v30
	v_mul_f32_e32 v31, 0x3f763a35, v19
	v_fmac_f32_e32 v28, 0x3dbcf732, v17
	v_add_f32_e32 v30, v30, v37
	v_fma_f32 v37, v16, s7, -v31
	v_fmac_f32_e32 v31, 0xbe8c1d8e, v16
	v_add_f32_e32 v28, v28, v41
	v_fmac_f32_e32 v36, 0xbf7ba420, v17
	v_mul_f32_e32 v41, 0x3f763a35, v18
	v_add_f32_e32 v31, v31, v42
	v_mul_f32_e32 v42, 0x3eb8f4ab, v19
	v_add_f32_e32 v36, v36, v43
	v_add_f32_e32 v37, v37, v44
	v_mov_b32_e32 v43, v41
	v_fma_f32 v41, v17, s7, -v41
	v_fma_f32 v44, v16, s2, -v42
	v_fmac_f32_e32 v42, 0x3f6eb680, v16
	v_fmac_f32_e32 v43, 0xbe8c1d8e, v17
	v_add_f32_e32 v41, v41, v45
	v_mul_f32_e32 v45, 0x3eb8f4ab, v18
	v_add_f32_e32 v42, v42, v47
	v_mul_f32_e32 v47, 0xbf65296c, v19
	v_add_f32_e32 v43, v43, v46
	v_add_f32_e32 v44, v44, v48
	v_mov_b32_e32 v46, v45
	v_fma_f32 v45, v17, s2, -v45
	v_fma_f32 v48, v16, s3, -v47
	v_fmac_f32_e32 v47, 0x3ee437d1, v16
	v_fmac_f32_e32 v46, 0x3f6eb680, v17
	v_add_f32_e32 v45, v45, v49
	;; [unrolled: 11-line block ×3, first 2 shown]
	v_mul_f32_e32 v53, 0xbf06c442, v18
	v_add_f32_e32 v51, v51, v55
	v_mul_f32_e32 v55, 0x3f4c4adb, v19
	v_add_f32_e32 v50, v50, v54
	v_add_f32_e32 v52, v52, v56
	v_mov_b32_e32 v54, v53
	v_fma_f32 v53, v17, s17, -v53
	v_fma_f32 v56, v16, s12, -v55
	v_fmac_f32_e32 v55, 0xbf1a4643, v16
	v_mul_f32_e32 v19, 0x3f2c7751, v19
	v_add_f32_e32 v53, v53, v57
	v_mul_f32_e32 v57, 0x3f4c4adb, v18
	v_add_f32_e32 v55, v55, v59
	v_fma_f32 v59, v16, s1, -v19
	v_mul_f32_e32 v18, 0x3f2c7751, v18
	v_fmac_f32_e32 v19, 0x3f3d2fb0, v16
	v_fmac_f32_e32 v54, 0xbf59a7d5, v17
	v_add_f32_e32 v14, v19, v14
	v_fma_f32 v16, v17, s1, -v18
	v_sub_f32_e32 v19, v25, v27
	v_add_f32_e32 v54, v54, v58
	v_add_f32_e32 v56, v56, v60
	v_mov_b32_e32 v58, v57
	v_mov_b32_e32 v60, v18
	v_add_f32_e32 v15, v16, v15
	v_add_f32_e32 v16, v26, v24
	v_sub_f32_e32 v18, v24, v26
	v_mul_f32_e32 v24, 0xbf763a35, v19
	v_fmac_f32_e32 v58, 0xbf1a4643, v17
	v_fma_f32 v57, v17, s12, -v57
	v_fmac_f32_e32 v60, 0x3f3d2fb0, v17
	v_add_f32_e32 v17, v27, v25
	v_fma_f32 v25, v16, s7, -v24
	v_add_f32_e32 v21, v25, v21
	v_mul_f32_e32 v25, 0xbf763a35, v18
	v_fmac_f32_e32 v24, 0xbe8c1d8e, v16
	v_add_f32_e32 v20, v24, v20
	v_fma_f32 v24, v17, s7, -v25
	v_mov_b32_e32 v26, v25
	v_add_f32_e32 v22, v24, v22
	v_mul_f32_e32 v24, 0x3f06c442, v19
	v_fmac_f32_e32 v26, 0xbe8c1d8e, v17
	v_fma_f32 v25, v16, s17, -v24
	v_mul_f32_e32 v27, 0x3f06c442, v18
	v_fmac_f32_e32 v24, 0xbf59a7d5, v16
	v_add_f32_e32 v26, v26, v28
	v_mov_b32_e32 v28, v27
	v_add_f32_e32 v23, v24, v23
	v_fma_f32 v24, v17, s17, -v27
	v_mul_f32_e32 v27, 0x3f2c7751, v19
	v_add_f32_e32 v25, v25, v29
	v_fmac_f32_e32 v28, 0xbf59a7d5, v17
	v_add_f32_e32 v24, v24, v30
	v_fma_f32 v29, v16, s1, -v27
	v_mul_f32_e32 v30, 0x3f2c7751, v18
	v_fmac_f32_e32 v27, 0x3f3d2fb0, v16
	v_add_f32_e32 v28, v28, v36
	v_mov_b32_e32 v36, v30
	v_add_f32_e32 v27, v27, v31
	v_fma_f32 v30, v17, s1, -v30
	v_mul_f32_e32 v31, 0xbf65296c, v19
	v_add_f32_e32 v29, v29, v37
	v_fmac_f32_e32 v36, 0x3f3d2fb0, v17
	v_add_f32_e32 v30, v30, v41
	;; [unrolled: 11-line block ×5, first 2 shown]
	v_fma_f32 v52, v16, s2, -v51
	v_mul_f32_e32 v53, 0xbeb8f4ab, v18
	v_mul_f32_e32 v18, 0xbf4c4adb, v18
	v_add_f32_e32 v50, v50, v54
	v_add_f32_e32 v52, v52, v56
	v_mov_b32_e32 v54, v53
	v_fmac_f32_e32 v51, 0x3f6eb680, v16
	v_mul_f32_e32 v19, 0xbf4c4adb, v19
	v_mov_b32_e32 v56, v18
	v_fmac_f32_e32 v54, 0x3f6eb680, v17
	v_add_f32_e32 v51, v51, v55
	v_fma_f32 v53, v17, s2, -v53
	v_fma_f32 v55, v16, s12, -v19
	v_fmac_f32_e32 v56, 0xbf1a4643, v17
	v_fmac_f32_e32 v19, 0xbf1a4643, v16
	v_fma_f32 v16, v17, s12, -v18
	v_add_f32_e32 v17, v11, v5
	v_sub_f32_e32 v5, v5, v11
	v_add_f32_e32 v15, v16, v15
	v_add_f32_e32 v16, v10, v4
	v_sub_f32_e32 v4, v4, v10
	v_mul_f32_e32 v10, 0xbf4c4adb, v5
	v_fma_f32 v11, v16, s12, -v10
	v_mul_f32_e32 v18, 0xbf4c4adb, v4
	v_fmac_f32_e32 v10, 0xbf1a4643, v16
	v_add_f32_e32 v14, v19, v14
	v_mov_b32_e32 v19, v18
	v_add_f32_e32 v10, v10, v20
	v_fma_f32 v18, v17, s12, -v18
	v_mul_f32_e32 v20, 0x3f763a35, v5
	v_add_f32_e32 v11, v11, v21
	v_add_f32_e32 v18, v18, v22
	v_fma_f32 v21, v16, s7, -v20
	v_mul_f32_e32 v22, 0x3f763a35, v4
	v_fmac_f32_e32 v20, 0xbe8c1d8e, v16
	v_fmac_f32_e32 v19, 0xbf1a4643, v17
	v_add_f32_e32 v21, v21, v25
	v_mov_b32_e32 v25, v22
	v_add_f32_e32 v20, v20, v23
	v_fma_f32 v22, v17, s7, -v22
	v_mul_f32_e32 v23, 0xbeb8f4ab, v5
	v_add_f32_e32 v19, v19, v26
	v_fmac_f32_e32 v25, 0xbe8c1d8e, v17
	v_add_f32_e32 v22, v22, v24
	v_fma_f32 v24, v16, s2, -v23
	v_mul_f32_e32 v26, 0xbeb8f4ab, v4
	v_fmac_f32_e32 v23, 0x3f6eb680, v16
	v_add_f32_e32 v25, v25, v28
	v_mov_b32_e32 v28, v26
	v_add_f32_e32 v23, v23, v27
	v_fma_f32 v26, v17, s2, -v26
	v_mul_f32_e32 v27, 0xbf06c442, v5
	v_add_f32_e32 v24, v24, v29
	v_fmac_f32_e32 v28, 0x3f6eb680, v17
	v_add_f32_e32 v26, v26, v30
	v_fma_f32 v29, v16, s17, -v27
	v_mul_f32_e32 v30, 0xbf06c442, v4
	;; [unrolled: 11-line block ×4, first 2 shown]
	v_fmac_f32_e32 v42, 0x3f3d2fb0, v16
	v_add_f32_e32 v43, v43, v46
	v_mov_b32_e32 v46, v45
	v_add_f32_e32 v42, v42, v47
	v_fma_f32 v45, v17, s1, -v45
	v_mul_f32_e32 v47, 0xbe3c28d5, v5
	v_add_f32_e32 v44, v44, v48
	v_add_f32_e32 v45, v45, v49
	v_fma_f32 v48, v16, s16, -v47
	v_mul_f32_e32 v49, 0xbe3c28d5, v4
	v_mul_f32_e32 v4, 0x3f65296c, v4
	v_add_f32_e32 v48, v48, v52
	v_fmac_f32_e32 v47, 0xbf7ba420, v16
	v_mul_f32_e32 v5, 0x3f65296c, v5
	v_mov_b32_e32 v52, v4
	v_fma_f32 v4, v17, s3, -v4
	v_add_f32_e32 v47, v47, v51
	v_fma_f32 v51, v16, s3, -v5
	v_fmac_f32_e32 v5, 0x3ee437d1, v16
	v_add_f32_e32 v4, v4, v15
	v_add_f32_e32 v15, v9, v7
	v_sub_f32_e32 v7, v7, v9
	v_add_f32_e32 v5, v5, v14
	v_add_f32_e32 v14, v8, v6
	v_sub_f32_e32 v6, v6, v8
	v_mul_f32_e32 v8, 0xbf06c442, v7
	v_fma_f32 v9, v14, s17, -v8
	v_fmac_f32_e32 v46, 0x3f3d2fb0, v17
	v_add_f32_e32 v9, v9, v11
	v_mul_f32_e32 v11, 0xbf06c442, v6
	v_fmac_f32_e32 v8, 0xbf59a7d5, v14
	v_add_f32_e32 v46, v46, v50
	v_mov_b32_e32 v50, v49
	v_mov_b32_e32 v16, v11
	v_add_f32_e32 v8, v8, v10
	v_fma_f32 v10, v15, s17, -v11
	v_mul_f32_e32 v11, 0x3f65296c, v7
	v_fmac_f32_e32 v50, 0xbf7ba420, v17
	v_fma_f32 v49, v17, s16, -v49
	v_fmac_f32_e32 v52, 0x3ee437d1, v17
	v_fmac_f32_e32 v16, 0xbf59a7d5, v15
	v_add_f32_e32 v10, v10, v18
	v_fma_f32 v17, v14, s3, -v11
	v_mul_f32_e32 v18, 0x3f65296c, v6
	v_fmac_f32_e32 v11, 0x3ee437d1, v14
	v_add_f32_e32 v16, v16, v19
	v_mov_b32_e32 v19, v18
	v_add_f32_e32 v11, v11, v20
	v_fma_f32 v18, v15, s3, -v18
	v_mul_f32_e32 v20, 0xbf7ee86f, v7
	v_add_f32_e32 v17, v17, v21
	v_add_f32_e32 v18, v18, v22
	v_fma_f32 v21, v14, s0, -v20
	v_mul_f32_e32 v22, 0xbf7ee86f, v6
	v_fmac_f32_e32 v20, 0x3dbcf732, v14
	v_fmac_f32_e32 v19, 0x3ee437d1, v15
	v_add_f32_e32 v21, v21, v24
	v_mov_b32_e32 v24, v22
	v_add_f32_e32 v20, v20, v23
	v_fma_f32 v22, v15, s0, -v22
	v_mul_f32_e32 v23, 0x3f4c4adb, v7
	v_add_f32_e32 v19, v19, v25
	v_fmac_f32_e32 v24, 0x3dbcf732, v15
	v_add_f32_e32 v22, v22, v26
	v_fma_f32 v25, v14, s12, -v23
	v_mul_f32_e32 v26, 0x3f4c4adb, v6
	v_fmac_f32_e32 v23, 0xbf1a4643, v14
	v_add_f32_e32 v24, v24, v28
	v_mov_b32_e32 v28, v26
	v_add_f32_e32 v23, v23, v27
	v_fma_f32 v26, v15, s12, -v26
	v_mul_f32_e32 v27, 0xbeb8f4ab, v7
	v_add_f32_e32 v25, v25, v29
	v_fmac_f32_e32 v28, 0xbf1a4643, v15
	v_add_f32_e32 v26, v26, v30
	v_fma_f32 v29, v14, s2, -v27
	v_mul_f32_e32 v30, 0xbeb8f4ab, v6
	v_fmac_f32_e32 v27, 0x3f6eb680, v14
	v_add_f32_e32 v66, v66, v70
	v_add_f32_e32 v65, v65, v69
	;; [unrolled: 1-line block ×4, first 2 shown]
	v_mov_b32_e32 v36, v30
	v_add_f32_e32 v27, v27, v31
	v_fma_f32 v30, v15, s2, -v30
	v_mul_f32_e32 v31, 0xbe3c28d5, v7
	v_add_f32_e32 v68, v68, v72
	v_add_f32_e32 v62, v62, v66
	;; [unrolled: 1-line block ×5, first 2 shown]
	v_fmac_f32_e32 v36, 0x3f6eb680, v15
	v_add_f32_e32 v30, v30, v41
	v_fma_f32 v37, v14, s16, -v31
	v_mul_f32_e32 v41, 0xbe3c28d5, v6
	v_fmac_f32_e32 v31, 0xbf7ba420, v14
	v_add_f32_e32 v64, v64, v68
	v_add_f32_e32 v58, v58, v62
	;; [unrolled: 1-line block ×5, first 2 shown]
	v_mov_b32_e32 v43, v41
	v_add_f32_e32 v31, v31, v42
	v_fma_f32 v41, v15, s16, -v41
	v_mul_f32_e32 v42, 0x3f2c7751, v7
	v_add_f32_e32 v60, v60, v64
	v_add_f32_e32 v54, v54, v58
	;; [unrolled: 1-line block ×5, first 2 shown]
	v_fmac_f32_e32 v43, 0xbf7ba420, v15
	v_add_f32_e32 v41, v41, v45
	v_fma_f32 v44, v14, s1, -v42
	v_mul_f32_e32 v45, 0x3f2c7751, v6
	v_fmac_f32_e32 v42, 0x3f3d2fb0, v14
	v_mul_f32_e32 v7, 0xbf763a35, v7
	v_mul_f32_e32 v6, 0xbf763a35, v6
	v_add_f32_e32 v56, v56, v60
	v_add_f32_e32 v50, v50, v54
	;; [unrolled: 1-line block ×6, first 2 shown]
	v_mov_b32_e32 v46, v45
	v_add_f32_e32 v42, v42, v47
	v_fma_f32 v45, v15, s1, -v45
	v_fma_f32 v47, v14, s7, -v7
	v_mov_b32_e32 v48, v6
	v_fmac_f32_e32 v7, 0xbe8c1d8e, v14
	v_sub_f32_e32 v54, v1, v3
	v_add_f32_e32 v52, v52, v56
	v_fmac_f32_e32 v46, 0x3f3d2fb0, v15
	v_add_f32_e32 v45, v45, v49
	v_add_f32_e32 v47, v47, v51
	v_fmac_f32_e32 v48, 0xbe8c1d8e, v15
	v_add_f32_e32 v49, v7, v5
	v_fma_f32 v5, v15, s7, -v6
	v_add_f32_e32 v51, v2, v0
	v_sub_f32_e32 v53, v0, v2
	v_mul_f32_e32 v6, 0x3eb8f4ab, v54
	v_add_f32_e32 v46, v46, v50
	v_add_f32_e32 v48, v48, v52
	;; [unrolled: 1-line block ×4, first 2 shown]
	v_mul_f32_e32 v2, 0xbe3c28d5, v54
	v_mul_f32_e32 v3, 0xbe3c28d5, v53
	v_fma_f32 v4, v51, s2, -v6
	v_fmac_f32_e32 v6, 0x3f6eb680, v51
	v_fma_f32 v0, v51, s16, -v2
	v_mov_b32_e32 v1, v3
	v_fma_f32 v3, v52, s16, -v3
	v_add_f32_e32 v6, v6, v11
	v_mul_f32_e32 v11, 0xbf06c442, v53
	v_add_f32_e32 v0, v0, v9
	v_fmac_f32_e32 v1, 0xbf7ba420, v52
	v_fmac_f32_e32 v2, 0xbf7ba420, v51
	v_add_f32_e32 v3, v3, v10
	v_mul_f32_e32 v7, 0x3eb8f4ab, v53
	v_mul_f32_e32 v10, 0xbf06c442, v54
	v_mov_b32_e32 v9, v11
	v_add_f32_e32 v1, v1, v16
	v_add_f32_e32 v2, v2, v8
	v_mov_b32_e32 v5, v7
	v_fma_f32 v8, v51, s17, -v10
	v_fmac_f32_e32 v9, 0xbf59a7d5, v52
	v_fmac_f32_e32 v10, 0xbf59a7d5, v51
	v_mul_f32_e32 v16, 0x3f2c7751, v54
	v_add_f32_e32 v4, v4, v17
	v_fmac_f32_e32 v5, 0x3f6eb680, v52
	v_fma_f32 v7, v52, s2, -v7
	v_add_f32_e32 v8, v8, v21
	v_add_f32_e32 v9, v9, v24
	;; [unrolled: 1-line block ×3, first 2 shown]
	v_fma_f32 v11, v52, s17, -v11
	v_fma_f32 v14, v51, s1, -v16
	v_mul_f32_e32 v17, 0x3f2c7751, v53
	v_mul_f32_e32 v20, 0xbf4c4adb, v54
	;; [unrolled: 1-line block ×4, first 2 shown]
	v_add_f32_e32 v5, v5, v19
	v_add_f32_e32 v7, v7, v18
	;; [unrolled: 1-line block ×4, first 2 shown]
	v_mov_b32_e32 v15, v17
	v_fmac_f32_e32 v16, 0x3f3d2fb0, v51
	v_fma_f32 v18, v51, s12, -v20
	v_mov_b32_e32 v19, v21
	v_fma_f32 v22, v51, s3, -v24
	v_mul_f32_e32 v25, 0x3f65296c, v53
	v_fmac_f32_e32 v15, 0x3f3d2fb0, v52
	v_add_f32_e32 v16, v16, v23
	v_add_f32_e32 v18, v18, v29
	v_fmac_f32_e32 v19, 0xbf1a4643, v52
	v_fmac_f32_e32 v20, 0xbf1a4643, v51
	v_add_f32_e32 v22, v22, v37
	v_mov_b32_e32 v23, v25
	v_fmac_f32_e32 v24, 0x3ee437d1, v51
	v_fma_f32 v25, v52, s3, -v25
	v_mul_f32_e32 v29, 0xbf763a35, v53
	v_mul_f32_e32 v37, 0x3f7ee86f, v53
	v_add_f32_e32 v15, v15, v28
	v_fma_f32 v17, v52, s1, -v17
	v_add_f32_e32 v19, v19, v36
	v_add_f32_e32 v20, v20, v27
	v_fma_f32 v21, v52, s12, -v21
	v_add_f32_e32 v24, v24, v31
	v_add_f32_e32 v25, v25, v41
	v_mul_f32_e32 v28, 0xbf763a35, v54
	v_mov_b32_e32 v27, v29
	v_mul_f32_e32 v36, 0x3f7ee86f, v54
	v_mov_b32_e32 v31, v37
	v_mul_lo_u16_e32 v41, 17, v134
	v_add_f32_e32 v17, v17, v26
	v_add_f32_e32 v21, v21, v30
	v_fmac_f32_e32 v23, 0x3ee437d1, v52
	v_fma_f32 v26, v51, s7, -v28
	v_fmac_f32_e32 v27, 0xbe8c1d8e, v52
	v_fmac_f32_e32 v28, 0xbe8c1d8e, v51
	v_fma_f32 v29, v52, s7, -v29
	v_fma_f32 v30, v51, s0, -v36
	v_fmac_f32_e32 v31, 0x3dbcf732, v52
	v_fmac_f32_e32 v36, 0x3dbcf732, v51
	v_fma_f32 v37, v52, s0, -v37
	v_lshlrev_b32_e32 v136, 3, v41
	v_add_f32_e32 v23, v23, v43
	v_add_f32_e32 v26, v26, v44
	;; [unrolled: 1-line block ×9, first 2 shown]
	s_barrier
	ds_write2_b64 v136, v[12:13], v[0:1] offset1:1
	ds_write2_b64 v136, v[4:5], v[8:9] offset0:2 offset1:3
	ds_write2_b64 v136, v[14:15], v[18:19] offset0:4 offset1:5
	;; [unrolled: 1-line block ×7, first 2 shown]
	ds_write_b64 v136, v[2:3] offset:128
	v_mul_lo_u16_sdwa v0, v134, s18 dst_sel:DWORD dst_unused:UNUSED_PAD src0_sel:BYTE_0 src1_sel:DWORD
	v_lshrrev_b16_e32 v41, 12, v0
	v_mul_lo_u16_e32 v0, 17, v41
	v_sub_u16_e32 v0, v134, v0
	v_and_b32_e32 v42, 0xff, v0
	v_lshlrev_b32_e32 v36, 7, v42
	s_waitcnt lgkmcnt(0)
	s_barrier
	global_load_dwordx4 v[24:27], v36, s[14:15]
	global_load_dwordx4 v[16:19], v36, s[14:15] offset:16
	global_load_dwordx4 v[8:11], v36, s[14:15] offset:32
	;; [unrolled: 1-line block ×7, first 2 shown]
	ds_read2_b64 v[49:52], v133 offset1:102
	ds_read2_b64 v[43:46], v32 offset0:76 offset1:178
	ds_read2_b64 v[53:56], v38 offset0:152 offset1:254
	ds_read2_b64 v[57:60], v39 offset0:100 offset1:202
	ds_read2_b64 v[61:64], v40 offset0:48 offset1:150
	ds_read2_b64 v[65:68], v33 offset0:124 offset1:226
	ds_read2_b64 v[69:72], v34 offset0:72 offset1:174
	ds_read2_b64 v[123:126], v35 offset0:148 offset1:250
	ds_read_b64 v[32:33], v133 offset:13056
	v_mul_u32_u24_e32 v41, 0x121, v41
	s_waitcnt vmcnt(0) lgkmcnt(0)
	s_barrier
	v_mul_f32_e32 v34, v52, v25
	v_fma_f32 v47, v51, v24, -v34
	v_mul_f32_e32 v48, v51, v25
	v_mul_f32_e32 v34, v44, v27
	v_fmac_f32_e32 v48, v52, v24
	v_fma_f32 v51, v43, v26, -v34
	v_mul_f32_e32 v52, v43, v27
	v_mul_f32_e32 v43, v66, v31
	v_fma_f32 v121, v65, v30, -v43
	v_mul_f32_e32 v43, v68, v21
	v_mul_f32_e32 v34, v46, v17
	v_fma_f32 v132, v67, v20, -v43
	v_mul_f32_e32 v43, v70, v23
	v_fma_f32 v75, v45, v16, -v34
	v_mul_f32_e32 v34, v54, v19
	v_mul_f32_e32 v130, v67, v21
	v_fma_f32 v77, v69, v22, -v43
	v_mul_f32_e32 v43, v72, v13
	v_fma_f32 v138, v53, v18, -v34
	v_mul_f32_e32 v34, v56, v9
	v_mul_f32_e32 v122, v57, v11
	v_fmac_f32_e32 v130, v68, v20
	v_fma_f32 v68, v71, v12, -v43
	v_mul_f32_e32 v43, v124, v15
	v_fma_f32 v76, v55, v8, -v34
	v_mul_f32_e32 v34, v58, v11
	v_fmac_f32_e32 v122, v58, v10
	v_mul_f32_e32 v131, v69, v23
	v_fma_f32 v58, v123, v14, -v43
	v_mul_f32_e32 v43, v126, v5
	v_mul_f32_e32 v69, v32, v7
	v_fma_f32 v127, v57, v10, -v34
	v_fma_f32 v57, v125, v4, -v43
	v_mul_f32_e32 v43, v33, v7
	v_fmac_f32_e32 v69, v33, v6
	v_mul_f32_e32 v34, v60, v1
	v_mul_f32_e32 v36, v64, v29
	v_fma_f32 v67, v32, v6, -v43
	v_sub_f32_e32 v33, v48, v69
	v_mul_f32_e32 v137, v45, v17
	v_mul_f32_e32 v139, v53, v19
	;; [unrolled: 1-line block ×3, first 2 shown]
	v_fma_f32 v118, v59, v0, -v34
	v_mul_f32_e32 v117, v59, v1
	v_mul_f32_e32 v34, v62, v3
	v_fma_f32 v37, v63, v28, -v36
	v_mul_f32_e32 v36, v63, v29
	v_add_f32_e32 v32, v47, v67
	v_mul_f32_e32 v43, 0xbeb8f4ab, v33
	v_mul_f32_e32 v45, 0xbf2c7751, v33
	;; [unrolled: 1-line block ×8, first 2 shown]
	v_sub_f32_e32 v63, v47, v67
	v_fmac_f32_e32 v52, v44, v26
	v_fmac_f32_e32 v137, v46, v16
	v_fmac_f32_e32 v139, v54, v18
	v_fmac_f32_e32 v79, v56, v8
	v_fma_f32 v35, v61, v2, -v34
	v_mul_f32_e32 v34, v61, v3
	v_fma_f32 v44, v32, s2, -v43
	v_fmac_f32_e32 v43, 0x3f6eb680, v32
	v_fma_f32 v46, v32, s1, -v45
	v_fmac_f32_e32 v45, 0x3f3d2fb0, v32
	;; [unrolled: 2-line block ×8, first 2 shown]
	v_add_f32_e32 v32, v48, v69
	v_mul_f32_e32 v74, 0xbf7ee86f, v63
	v_mov_b32_e32 v145, v74
	v_fma_f32 v146, v32, s0, -v74
	v_mul_f32_e32 v74, 0xbf763a35, v63
	v_mul_f32_e32 v120, v65, v31
	v_fmac_f32_e32 v131, v70, v22
	v_mul_f32_e32 v70, v71, v13
	v_mov_b32_e32 v147, v74
	v_fma_f32 v148, v32, s7, -v74
	v_mul_f32_e32 v74, 0xbf4c4adb, v63
	v_fmac_f32_e32 v36, v64, v28
	v_fmac_f32_e32 v120, v66, v30
	;; [unrolled: 1-line block ×3, first 2 shown]
	v_mul_f32_e32 v64, 0xbeb8f4ab, v63
	v_mul_f32_e32 v66, 0xbf2c7751, v63
	;; [unrolled: 1-line block ×3, first 2 shown]
	v_mov_b32_e32 v149, v74
	v_fma_f32 v150, v32, s12, -v74
	v_mul_f32_e32 v74, 0xbf06c442, v63
	v_mul_f32_e32 v63, 0xbe3c28d5, v63
	v_mov_b32_e32 v65, v64
	v_mov_b32_e32 v71, v66
	v_mov_b32_e32 v73, v72
	v_mov_b32_e32 v151, v74
	v_mov_b32_e32 v153, v63
	v_fmac_f32_e32 v65, 0x3f6eb680, v32
	v_fma_f32 v64, v32, s2, -v64
	v_fmac_f32_e32 v71, 0x3f3d2fb0, v32
	v_fma_f32 v66, v32, s1, -v66
	;; [unrolled: 2-line block ×3, first 2 shown]
	v_fmac_f32_e32 v145, 0x3dbcf732, v32
	v_fmac_f32_e32 v147, 0xbe8c1d8e, v32
	;; [unrolled: 1-line block ×4, first 2 shown]
	v_fma_f32 v152, v32, s17, -v74
	v_fmac_f32_e32 v153, 0xbf7ba420, v32
	v_fma_f32 v32, v32, s16, -v63
	v_add_f32_e32 v154, v49, v47
	v_add_f32_e32 v129, v49, v43
	;; [unrolled: 1-line block ×16, first 2 shown]
	v_fmac_f32_e32 v117, v60, v0
	v_add_f32_e32 v33, v33, v122
	v_add_f32_e32 v32, v32, v35
	v_fmac_f32_e32 v34, v62, v2
	v_add_f32_e32 v33, v33, v117
	v_add_f32_e32 v32, v32, v37
	;; [unrolled: 1-line block ×4, first 2 shown]
	v_mul_f32_e32 v60, v125, v5
	v_add_f32_e32 v33, v33, v36
	v_add_f32_e32 v32, v32, v132
	v_mul_f32_e32 v62, v123, v15
	v_fmac_f32_e32 v60, v126, v4
	v_add_f32_e32 v33, v33, v120
	v_add_f32_e32 v32, v32, v77
	v_fmac_f32_e32 v62, v124, v14
	v_add_f32_e32 v157, v50, v65
	v_add_f32_e32 v128, v50, v64
	;; [unrolled: 1-line block ×22, first 2 shown]
	v_sub_f32_e32 v52, v52, v60
	v_add_f32_e32 v126, v49, v46
	v_add_f32_e32 v119, v49, v54
	v_add_f32_e32 v74, v49, v56
	v_add_f32_e32 v66, v49, v61
	v_add_f32_e32 v61, v49, v141
	v_add_f32_e32 v56, v49, v140
	v_add_f32_e32 v54, v49, v143
	v_add_f32_e32 v48, v49, v142
	v_add_f32_e32 v46, v49, v144
	v_add_f32_e32 v33, v33, v131
	v_add_f32_e32 v32, v32, v58
	v_add_f32_e32 v49, v51, v57
	v_sub_f32_e32 v51, v51, v57
	v_mul_f32_e32 v141, 0xbf2c7751, v52
	v_add_f32_e32 v33, v33, v70
	v_add_f32_e32 v32, v32, v57
	v_fma_f32 v57, v49, s1, -v141
	v_mul_f32_e32 v142, 0xbf2c7751, v51
	v_add_f32_e32 v33, v33, v62
	v_add_f32_e32 v32, v32, v67
	v_add_f32_e32 v67, v57, v156
	v_mov_b32_e32 v57, v142
	v_add_f32_e32 v33, v33, v60
	v_fmac_f32_e32 v57, 0x3f3d2fb0, v50
	v_add_f32_e32 v33, v33, v69
	v_add_f32_e32 v69, v57, v157
	;; [unrolled: 1-line block ×3, first 2 shown]
	v_sub_f32_e32 v60, v75, v58
	v_add_f32_e32 v58, v137, v62
	v_sub_f32_e32 v62, v137, v62
	v_mul_f32_e32 v146, 0xbf65296c, v62
	v_fma_f32 v75, v57, s3, -v146
	v_mul_f32_e32 v147, 0xbf65296c, v60
	v_add_f32_e32 v75, v75, v67
	v_mov_b32_e32 v67, v147
	v_fmac_f32_e32 v67, 0x3ee437d1, v58
	v_add_f32_e32 v137, v67, v69
	v_add_f32_e32 v67, v138, v68
	v_sub_f32_e32 v69, v138, v68
	v_add_f32_e32 v68, v139, v70
	v_sub_f32_e32 v70, v139, v70
	v_mul_f32_e32 v148, 0xbf7ee86f, v70
	v_fma_f32 v138, v67, s0, -v148
	v_mul_f32_e32 v149, 0xbf7ee86f, v69
	v_add_f32_e32 v138, v138, v75
	v_mov_b32_e32 v75, v149
	v_fmac_f32_e32 v75, 0x3dbcf732, v68
	v_add_f32_e32 v137, v75, v137
	v_add_f32_e32 v75, v76, v77
	v_sub_f32_e32 v77, v76, v77
	v_add_f32_e32 v76, v79, v131
	v_sub_f32_e32 v79, v79, v131
	v_mul_f32_e32 v150, 0xbf763a35, v79
	v_fma_f32 v131, v75, s7, -v150
	v_mul_f32_e32 v151, 0xbf763a35, v77
	v_add_f32_e32 v139, v131, v138
	v_mov_b32_e32 v131, v151
	v_fmac_f32_e32 v131, 0xbe8c1d8e, v76
	v_sub_f32_e32 v138, v122, v130
	v_add_f32_e32 v140, v131, v137
	v_add_f32_e32 v131, v127, v132
	v_sub_f32_e32 v137, v127, v132
	v_add_f32_e32 v132, v122, v130
	v_mul_f32_e32 v122, 0xbf4c4adb, v138
	v_fma_f32 v127, v131, s12, -v122
	v_mul_f32_e32 v130, 0xbf4c4adb, v137
	v_add_f32_e32 v127, v127, v139
	v_mov_b32_e32 v139, v130
	v_fmac_f32_e32 v139, 0xbf1a4643, v132
	v_add_f32_e32 v143, v139, v140
	v_add_f32_e32 v139, v118, v121
	v_sub_f32_e32 v140, v118, v121
	v_add_f32_e32 v118, v117, v120
	v_sub_f32_e32 v117, v117, v120
	v_mul_f32_e32 v121, 0xbf06c442, v117
	v_fma_f32 v120, v139, s17, -v121
	v_mul_f32_e32 v152, 0xbf06c442, v140
	v_add_f32_e32 v127, v120, v127
	v_mov_b32_e32 v120, v152
	v_fmac_f32_e32 v120, 0xbf59a7d5, v118
	v_sub_f32_e32 v145, v34, v36
	v_add_f32_e32 v153, v120, v143
	v_add_f32_e32 v120, v35, v37
	;; [unrolled: 1-line block ×3, first 2 shown]
	v_mul_f32_e32 v36, 0xbe3c28d5, v145
	v_fma_f32 v34, v120, s16, -v36
	v_fmac_f32_e32 v141, 0x3f3d2fb0, v49
	v_add_f32_e32 v34, v34, v127
	v_add_f32_e32 v127, v141, v129
	v_fma_f32 v129, v50, s1, -v142
	v_fmac_f32_e32 v146, 0x3ee437d1, v57
	v_add_f32_e32 v128, v129, v128
	v_add_f32_e32 v127, v146, v127
	v_fma_f32 v129, v58, s3, -v147
	v_fmac_f32_e32 v148, 0x3dbcf732, v67
	v_add_f32_e32 v128, v129, v128
	v_add_f32_e32 v127, v148, v127
	v_fma_f32 v129, v68, s0, -v149
	v_fmac_f32_e32 v150, 0xbe8c1d8e, v75
	v_add_f32_e32 v128, v129, v128
	v_add_f32_e32 v127, v150, v127
	v_fma_f32 v129, v76, s7, -v151
	v_fmac_f32_e32 v122, 0xbf1a4643, v131
	v_sub_f32_e32 v144, v35, v37
	v_add_f32_e32 v128, v129, v128
	v_add_f32_e32 v122, v122, v127
	v_fma_f32 v127, v132, s12, -v130
	v_fmac_f32_e32 v121, 0xbf59a7d5, v139
	v_mul_f32_e32 v37, 0xbe3c28d5, v144
	v_add_f32_e32 v127, v127, v128
	v_add_f32_e32 v121, v121, v122
	v_fma_f32 v122, v118, s17, -v152
	v_fmac_f32_e32 v36, 0xbf7ba420, v120
	v_add_f32_e32 v122, v122, v127
	v_add_f32_e32 v121, v36, v121
	v_fma_f32 v36, v143, s16, -v37
	v_mul_f32_e32 v127, 0xbf7ee86f, v52
	v_add_f32_e32 v122, v36, v122
	v_fma_f32 v36, v49, s0, -v127
	v_add_f32_e32 v36, v36, v126
	v_mul_f32_e32 v126, 0xbf7ee86f, v51
	v_mov_b32_e32 v35, v37
	v_mov_b32_e32 v37, v126
	v_fmac_f32_e32 v37, 0x3dbcf732, v50
	v_add_f32_e32 v37, v37, v125
	v_mul_f32_e32 v125, 0xbf4c4adb, v62
	v_fma_f32 v128, v57, s12, -v125
	v_add_f32_e32 v36, v128, v36
	v_mul_f32_e32 v128, 0xbf4c4adb, v60
	v_mov_b32_e32 v129, v128
	v_fmac_f32_e32 v129, 0xbf1a4643, v58
	v_add_f32_e32 v37, v129, v37
	v_mul_f32_e32 v129, 0xbe3c28d5, v70
	v_fma_f32 v130, v67, s16, -v129
	v_add_f32_e32 v36, v130, v36
	v_mul_f32_e32 v130, 0xbe3c28d5, v69
	;; [unrolled: 7-line block ×4, first 2 shown]
	v_mov_b32_e32 v148, v147
	v_fmac_f32_e32 v148, 0xbe8c1d8e, v132
	v_add_f32_e32 v37, v148, v37
	v_mul_f32_e32 v148, 0x3f65296c, v117
	v_fma_f32 v149, v139, s3, -v148
	v_fmac_f32_e32 v127, 0x3dbcf732, v49
	v_add_f32_e32 v36, v149, v36
	v_mul_f32_e32 v149, 0x3f65296c, v140
	v_add_f32_e32 v124, v127, v124
	v_fma_f32 v126, v50, s0, -v126
	v_fmac_f32_e32 v125, 0xbf1a4643, v57
	v_mov_b32_e32 v150, v149
	v_add_f32_e32 v123, v126, v123
	v_add_f32_e32 v124, v125, v124
	v_fma_f32 v125, v58, s12, -v128
	v_fmac_f32_e32 v129, 0xbf7ba420, v67
	v_fmac_f32_e32 v150, 0x3ee437d1, v118
	v_add_f32_e32 v123, v125, v123
	v_add_f32_e32 v124, v129, v124
	v_fma_f32 v125, v68, s16, -v130
	v_fmac_f32_e32 v141, 0xbf59a7d5, v75
	v_add_f32_e32 v37, v150, v37
	v_mul_f32_e32 v150, 0x3eb8f4ab, v145
	v_add_f32_e32 v123, v125, v123
	v_add_f32_e32 v124, v141, v124
	v_fma_f32 v125, v76, s17, -v142
	v_fmac_f32_e32 v146, 0xbe8c1d8e, v131
	v_fma_f32 v151, v120, s2, -v150
	v_add_f32_e32 v123, v125, v123
	v_add_f32_e32 v124, v146, v124
	v_fma_f32 v125, v132, s7, -v147
	v_fmac_f32_e32 v148, 0x3ee437d1, v139
	v_add_f32_e32 v36, v151, v36
	v_mul_f32_e32 v151, 0x3eb8f4ab, v144
	v_add_f32_e32 v123, v125, v123
	v_add_f32_e32 v124, v148, v124
	v_fma_f32 v125, v118, s3, -v149
	v_fmac_f32_e32 v150, 0x3f6eb680, v120
	v_add_f32_e32 v123, v125, v123
	v_add_f32_e32 v125, v150, v124
	v_fma_f32 v124, v143, s2, -v151
	v_add_f32_e32 v126, v124, v123
	v_mul_f32_e32 v123, 0xbf4c4adb, v52
	v_fma_f32 v124, v49, s12, -v123
	v_add_f32_e32 v119, v124, v119
	v_mul_f32_e32 v124, 0xbf4c4adb, v51
	v_mov_b32_e32 v127, v124
	v_fmac_f32_e32 v127, 0xbf1a4643, v50
	v_add_f32_e32 v116, v127, v116
	v_mul_f32_e32 v127, 0x3e3c28d5, v62
	v_fma_f32 v128, v57, s16, -v127
	v_add_f32_e32 v119, v128, v119
	v_mul_f32_e32 v128, 0x3e3c28d5, v60
	v_mov_b32_e32 v129, v128
	v_fmac_f32_e32 v129, 0xbf7ba420, v58
	;; [unrolled: 7-line block ×3, first 2 shown]
	v_mul_f32_e32 v146, 0x3f2c7751, v79
	v_add_f32_e32 v116, v141, v116
	v_fma_f32 v141, v75, s1, -v146
	v_mul_f32_e32 v147, 0x3f2c7751, v77
	v_add_f32_e32 v119, v141, v119
	v_mov_b32_e32 v141, v147
	v_fmac_f32_e32 v141, 0x3f3d2fb0, v76
	v_mul_f32_e32 v148, 0xbeb8f4ab, v138
	v_add_f32_e32 v116, v141, v116
	v_fma_f32 v141, v131, s2, -v148
	v_mul_f32_e32 v149, 0xbeb8f4ab, v137
	v_add_f32_e32 v119, v141, v119
	v_mov_b32_e32 v141, v149
	v_fmac_f32_e32 v141, 0x3f6eb680, v132
	v_mul_f32_e32 v150, 0xbf7ee86f, v117
	v_mov_b32_e32 v152, v151
	v_add_f32_e32 v116, v141, v116
	v_fma_f32 v141, v139, s0, -v150
	v_mul_f32_e32 v151, 0xbf7ee86f, v140
	v_fmac_f32_e32 v152, 0x3f6eb680, v143
	v_add_f32_e32 v119, v141, v119
	v_mov_b32_e32 v141, v151
	v_add_f32_e32 v37, v152, v37
	v_fmac_f32_e32 v141, 0x3dbcf732, v118
	v_mul_f32_e32 v152, 0xbf06c442, v145
	v_add_f32_e32 v116, v141, v116
	v_fma_f32 v141, v120, s17, -v152
	v_add_f32_e32 v141, v141, v119
	v_mul_f32_e32 v119, 0xbf06c442, v144
	v_mov_b32_e32 v142, v119
	v_fmac_f32_e32 v142, 0xbf59a7d5, v143
	v_fmac_f32_e32 v123, 0xbf1a4643, v49
	v_add_f32_e32 v142, v142, v116
	v_add_f32_e32 v115, v123, v115
	v_fma_f32 v116, v50, s12, -v124
	v_fmac_f32_e32 v127, 0xbf7ba420, v57
	v_add_f32_e32 v78, v116, v78
	v_add_f32_e32 v115, v127, v115
	v_fma_f32 v116, v58, s16, -v128
	;; [unrolled: 4-line block ×7, first 2 shown]
	v_add_f32_e32 v128, v115, v78
	v_mul_f32_e32 v78, 0xbe3c28d5, v52
	v_fma_f32 v115, v49, s16, -v78
	v_add_f32_e32 v74, v115, v74
	v_mul_f32_e32 v115, 0xbe3c28d5, v51
	v_mov_b32_e32 v116, v115
	v_fmac_f32_e32 v116, 0xbf7ba420, v50
	v_add_f32_e32 v73, v116, v73
	v_mul_f32_e32 v116, 0x3f763a35, v62
	v_fma_f32 v119, v57, s7, -v116
	v_add_f32_e32 v74, v119, v74
	v_mul_f32_e32 v119, 0x3f763a35, v60
	v_mov_b32_e32 v123, v119
	v_fmac_f32_e32 v123, 0xbe8c1d8e, v58
	;; [unrolled: 7-line block ×5, first 2 shown]
	v_fmac_f32_e32 v78, 0xbf7ba420, v49
	v_add_f32_e32 v73, v148, v73
	v_mul_f32_e32 v148, 0x3f4c4adb, v117
	v_add_f32_e32 v72, v78, v72
	v_fma_f32 v78, v50, s16, -v115
	v_fmac_f32_e32 v116, 0xbe8c1d8e, v57
	v_fma_f32 v149, v139, s12, -v148
	v_add_f32_e32 v71, v78, v71
	v_add_f32_e32 v72, v116, v72
	v_fma_f32 v78, v58, s7, -v119
	v_fmac_f32_e32 v123, 0x3f6eb680, v67
	v_add_f32_e32 v74, v149, v74
	v_mul_f32_e32 v149, 0x3f4c4adb, v140
	v_add_f32_e32 v71, v78, v71
	v_add_f32_e32 v72, v123, v72
	v_fma_f32 v78, v68, s2, -v124
	v_fmac_f32_e32 v129, 0x3ee437d1, v75
	v_mov_b32_e32 v150, v149
	v_add_f32_e32 v71, v78, v71
	v_add_f32_e32 v72, v129, v72
	v_fma_f32 v78, v76, s3, -v130
	v_fmac_f32_e32 v146, 0xbf59a7d5, v131
	v_fmac_f32_e32 v150, 0xbf1a4643, v118
	v_mul_f32_e32 v151, 0x3f2c7751, v145
	v_add_f32_e32 v71, v78, v71
	v_add_f32_e32 v72, v146, v72
	v_fma_f32 v78, v132, s17, -v147
	v_fmac_f32_e32 v148, 0xbf1a4643, v139
	v_add_f32_e32 v150, v150, v73
	v_fma_f32 v73, v120, s1, -v151
	v_mul_f32_e32 v152, 0x3f2c7751, v144
	v_add_f32_e32 v71, v78, v71
	v_add_f32_e32 v72, v148, v72
	v_fma_f32 v78, v118, s12, -v149
	v_fmac_f32_e32 v151, 0x3f3d2fb0, v120
	v_add_f32_e32 v71, v78, v71
	v_add_f32_e32 v129, v151, v72
	v_fma_f32 v72, v143, s1, -v152
	v_add_f32_e32 v130, v72, v71
	v_mul_f32_e32 v71, 0x3f06c442, v52
	v_fma_f32 v72, v49, s17, -v71
	v_add_f32_e32 v66, v72, v66
	v_mul_f32_e32 v72, 0x3f06c442, v51
	v_mov_b32_e32 v78, v72
	v_fmac_f32_e32 v78, 0xbf59a7d5, v50
	v_add_f32_e32 v65, v78, v65
	v_mul_f32_e32 v78, 0x3f2c7751, v62
	v_fma_f32 v115, v57, s1, -v78
	v_add_f32_e32 v66, v115, v66
	v_mul_f32_e32 v115, 0x3f2c7751, v60
	v_mov_b32_e32 v116, v115
	v_fmac_f32_e32 v116, 0x3f3d2fb0, v58
	;; [unrolled: 7-line block ×5, first 2 shown]
	v_fmac_f32_e32 v71, 0xbf59a7d5, v49
	v_add_f32_e32 v65, v148, v65
	v_mul_f32_e32 v148, 0xbeb8f4ab, v117
	v_add_f32_e32 v64, v71, v64
	v_fma_f32 v71, v50, s17, -v72
	v_fmac_f32_e32 v78, 0x3f3d2fb0, v57
	v_add_f32_e32 v73, v73, v74
	v_mov_b32_e32 v74, v152
	v_fma_f32 v149, v139, s2, -v148
	v_add_f32_e32 v63, v71, v63
	v_add_f32_e32 v64, v78, v64
	v_fma_f32 v71, v58, s1, -v115
	v_fmac_f32_e32 v116, 0x3ee437d1, v67
	v_fmac_f32_e32 v74, 0x3f3d2fb0, v143
	v_add_f32_e32 v66, v149, v66
	v_mul_f32_e32 v149, 0xbeb8f4ab, v140
	v_add_f32_e32 v63, v71, v63
	v_add_f32_e32 v64, v116, v64
	v_fma_f32 v71, v68, s3, -v119
	v_fmac_f32_e32 v123, 0xbf7ba420, v75
	v_add_f32_e32 v74, v74, v150
	v_mov_b32_e32 v150, v149
	v_add_f32_e32 v63, v71, v63
	v_add_f32_e32 v64, v123, v64
	v_fma_f32 v71, v76, s16, -v124
	v_fmac_f32_e32 v146, 0x3dbcf732, v131
	v_fmac_f32_e32 v150, 0x3f6eb680, v118
	v_mul_f32_e32 v151, 0xbf4c4adb, v145
	v_add_f32_e32 v63, v71, v63
	v_add_f32_e32 v64, v146, v64
	v_fma_f32 v71, v132, s0, -v147
	v_fmac_f32_e32 v148, 0x3f6eb680, v139
	v_add_f32_e32 v150, v150, v65
	v_fma_f32 v65, v120, s12, -v151
	v_mul_f32_e32 v152, 0xbf4c4adb, v144
	v_add_f32_e32 v63, v71, v63
	v_add_f32_e32 v64, v148, v64
	v_fma_f32 v71, v118, s2, -v149
	v_fmac_f32_e32 v151, 0xbf1a4643, v120
	v_add_f32_e32 v63, v71, v63
	v_add_f32_e32 v123, v151, v64
	v_fma_f32 v64, v143, s12, -v152
	v_mul_f32_e32 v71, 0x3f763a35, v52
	v_add_f32_e32 v124, v64, v63
	v_fma_f32 v63, v49, s7, -v71
	v_mul_f32_e32 v72, 0x3f763a35, v51
	v_add_f32_e32 v61, v63, v61
	v_mov_b32_e32 v63, v72
	v_fmac_f32_e32 v63, 0xbe8c1d8e, v50
	v_mul_f32_e32 v78, 0xbeb8f4ab, v62
	v_add_f32_e32 v59, v63, v59
	v_fma_f32 v63, v57, s2, -v78
	v_mul_f32_e32 v115, 0xbeb8f4ab, v60
	v_add_f32_e32 v61, v63, v61
	v_mov_b32_e32 v63, v115
	v_fmac_f32_e32 v63, 0x3f6eb680, v58
	;; [unrolled: 7-line block ×4, first 2 shown]
	v_mul_f32_e32 v148, 0xbf2c7751, v138
	v_add_f32_e32 v65, v65, v66
	v_mov_b32_e32 v66, v152
	v_add_f32_e32 v59, v63, v59
	v_fma_f32 v63, v131, s1, -v148
	v_mul_f32_e32 v149, 0xbf2c7751, v137
	v_fmac_f32_e32 v66, 0xbf1a4643, v143
	v_add_f32_e32 v61, v63, v61
	v_mov_b32_e32 v63, v149
	v_add_f32_e32 v66, v66, v150
	v_fmac_f32_e32 v63, 0x3f3d2fb0, v132
	v_mul_f32_e32 v150, 0xbe3c28d5, v117
	v_add_f32_e32 v59, v63, v59
	v_fma_f32 v63, v139, s16, -v150
	v_mul_f32_e32 v151, 0xbe3c28d5, v140
	v_add_f32_e32 v61, v63, v61
	v_mov_b32_e32 v63, v151
	v_fmac_f32_e32 v63, 0xbf7ba420, v118
	v_mul_f32_e32 v152, 0x3f65296c, v145
	v_add_f32_e32 v59, v63, v59
	v_fma_f32 v63, v120, s3, -v152
	v_add_f32_e32 v63, v63, v61
	v_mul_f32_e32 v61, 0x3f65296c, v144
	v_mov_b32_e32 v64, v61
	v_fmac_f32_e32 v64, 0x3ee437d1, v143
	v_fmac_f32_e32 v71, 0xbe8c1d8e, v49
	v_add_f32_e32 v64, v64, v59
	v_add_f32_e32 v56, v71, v56
	v_fma_f32 v59, v50, s7, -v72
	v_fmac_f32_e32 v78, 0x3f6eb680, v57
	v_add_f32_e32 v55, v59, v55
	v_add_f32_e32 v56, v78, v56
	v_fma_f32 v59, v58, s2, -v115
	;; [unrolled: 4-line block ×7, first 2 shown]
	v_add_f32_e32 v56, v56, v59
	v_mul_f32_e32 v59, 0x3f65296c, v52
	v_fma_f32 v61, v49, s3, -v59
	v_add_f32_e32 v54, v61, v54
	v_mul_f32_e32 v61, 0x3f65296c, v51
	v_mov_b32_e32 v71, v61
	v_fmac_f32_e32 v71, 0x3ee437d1, v50
	v_add_f32_e32 v53, v71, v53
	v_mul_f32_e32 v71, 0xbf7ee86f, v62
	v_fmac_f32_e32 v59, 0x3ee437d1, v49
	v_fma_f32 v72, v57, s0, -v71
	v_add_f32_e32 v48, v59, v48
	v_fma_f32 v59, v50, s3, -v61
	v_mul_f32_e32 v52, 0x3eb8f4ab, v52
	v_mul_f32_e32 v51, 0x3eb8f4ab, v51
	v_add_f32_e32 v54, v72, v54
	v_mul_f32_e32 v72, 0xbf7ee86f, v60
	v_add_f32_e32 v47, v59, v47
	v_fma_f32 v59, v49, s2, -v52
	v_fmac_f32_e32 v52, 0x3f6eb680, v49
	v_fma_f32 v49, v50, s2, -v51
	v_mov_b32_e32 v78, v72
	v_add_f32_e32 v43, v49, v43
	v_fma_f32 v49, v58, s0, -v72
	v_fmac_f32_e32 v78, 0x3dbcf732, v58
	v_add_f32_e32 v46, v59, v46
	v_mov_b32_e32 v59, v51
	v_add_f32_e32 v47, v49, v47
	v_mul_f32_e32 v49, 0xbf06c442, v62
	v_add_f32_e32 v53, v78, v53
	v_mul_f32_e32 v78, 0x3f4c4adb, v70
	v_fmac_f32_e32 v59, 0x3f6eb680, v50
	v_fma_f32 v50, v57, s17, -v49
	v_fma_f32 v115, v67, s12, -v78
	v_add_f32_e32 v44, v52, v44
	v_add_f32_e32 v46, v50, v46
	v_mul_f32_e32 v50, 0xbf06c442, v60
	v_fmac_f32_e32 v49, 0xbf59a7d5, v57
	v_add_f32_e32 v54, v115, v54
	v_mul_f32_e32 v115, 0x3f4c4adb, v69
	v_add_f32_e32 v44, v49, v44
	v_fma_f32 v49, v58, s17, -v50
	v_mov_b32_e32 v116, v115
	v_add_f32_e32 v43, v49, v43
	v_fma_f32 v49, v68, s12, -v115
	v_fmac_f32_e32 v116, 0xbf1a4643, v68
	v_add_f32_e32 v47, v49, v47
	v_mul_f32_e32 v49, 0x3f2c7751, v70
	v_add_f32_e32 v53, v116, v53
	v_mul_f32_e32 v116, 0xbeb8f4ab, v79
	v_mov_b32_e32 v51, v50
	v_fma_f32 v50, v67, s1, -v49
	v_fma_f32 v119, v75, s2, -v116
	v_add_f32_e32 v46, v50, v46
	v_mul_f32_e32 v50, 0x3f2c7751, v69
	v_fmac_f32_e32 v49, 0x3f3d2fb0, v67
	v_add_f32_e32 v54, v119, v54
	v_mul_f32_e32 v119, 0xbeb8f4ab, v77
	v_add_f32_e32 v44, v49, v44
	v_fma_f32 v49, v68, s1, -v50
	v_mov_b32_e32 v146, v119
	v_add_f32_e32 v43, v49, v43
	v_fma_f32 v49, v76, s2, -v119
	v_fmac_f32_e32 v146, 0x3f6eb680, v76
	v_add_f32_e32 v45, v59, v45
	v_fmac_f32_e32 v51, 0xbf59a7d5, v58
	v_add_f32_e32 v47, v49, v47
	v_mul_f32_e32 v49, 0xbf4c4adb, v79
	v_add_f32_e32 v53, v146, v53
	v_mul_f32_e32 v146, 0xbe3c28d5, v138
	v_add_f32_e32 v45, v51, v45
	v_mov_b32_e32 v51, v50
	v_fma_f32 v50, v75, s12, -v49
	v_fma_f32 v147, v131, s16, -v146
	v_add_f32_e32 v46, v50, v46
	v_mul_f32_e32 v50, 0xbf4c4adb, v77
	v_fmac_f32_e32 v49, 0xbf1a4643, v75
	v_add_f32_e32 v54, v147, v54
	v_mul_f32_e32 v147, 0xbe3c28d5, v137
	v_add_f32_e32 v44, v49, v44
	v_fma_f32 v49, v76, s12, -v50
	v_mov_b32_e32 v148, v147
	v_add_f32_e32 v43, v49, v43
	v_fma_f32 v49, v132, s16, -v147
	v_fmac_f32_e32 v148, 0xbf7ba420, v132
	v_fmac_f32_e32 v51, 0x3f3d2fb0, v68
	v_add_f32_e32 v47, v49, v47
	v_mul_f32_e32 v49, 0x3f65296c, v138
	v_add_f32_e32 v53, v148, v53
	v_mul_f32_e32 v148, 0x3f2c7751, v117
	v_add_f32_e32 v45, v51, v45
	v_mov_b32_e32 v51, v50
	v_fma_f32 v50, v131, s3, -v49
	v_fma_f32 v149, v139, s1, -v148
	v_add_f32_e32 v46, v50, v46
	v_mul_f32_e32 v50, 0x3f65296c, v137
	v_fmac_f32_e32 v49, 0x3ee437d1, v131
	v_add_f32_e32 v54, v149, v54
	v_mul_f32_e32 v149, 0x3f2c7751, v140
	v_add_f32_e32 v44, v49, v44
	v_fma_f32 v49, v132, s3, -v50
	v_add_f32_e32 v43, v49, v43
	v_fma_f32 v49, v118, s1, -v149
	v_fmac_f32_e32 v71, 0x3dbcf732, v57
	v_fmac_f32_e32 v51, 0xbf1a4643, v76
	v_add_f32_e32 v47, v49, v47
	v_mul_f32_e32 v49, 0xbf763a35, v117
	v_add_f32_e32 v48, v71, v48
	v_fmac_f32_e32 v78, 0xbf1a4643, v67
	v_add_f32_e32 v45, v51, v45
	v_mov_b32_e32 v51, v50
	v_fma_f32 v50, v139, s7, -v49
	v_add_f32_e32 v48, v78, v48
	v_fmac_f32_e32 v116, 0x3f6eb680, v75
	v_add_f32_e32 v46, v50, v46
	v_mul_f32_e32 v50, 0xbf763a35, v140
	v_fmac_f32_e32 v49, 0xbe8c1d8e, v139
	v_mov_b32_e32 v150, v149
	v_mul_f32_e32 v152, 0xbf763a35, v144
	v_add_f32_e32 v48, v116, v48
	v_fmac_f32_e32 v146, 0xbf7ba420, v131
	v_fmac_f32_e32 v51, 0x3ee437d1, v132
	v_add_f32_e32 v49, v49, v44
	v_fma_f32 v44, v118, s7, -v50
	v_fmac_f32_e32 v150, 0x3f3d2fb0, v118
	v_mul_f32_e32 v151, 0xbf763a35, v145
	v_add_f32_e32 v48, v146, v48
	v_add_f32_e32 v45, v51, v45
	v_fmac_f32_e32 v148, 0x3f3d2fb0, v139
	v_mov_b32_e32 v51, v50
	v_add_f32_e32 v50, v44, v43
	v_fma_f32 v44, v143, s7, -v152
	v_add_f32_e32 v150, v150, v53
	v_fma_f32 v53, v120, s7, -v151
	v_add_f32_e32 v48, v148, v48
	v_fmac_f32_e32 v51, 0xbe8c1d8e, v118
	v_fmac_f32_e32 v151, 0xbe8c1d8e, v120
	v_add_f32_e32 v44, v44, v47
	v_mul_f32_e32 v47, 0x3f7ee86f, v145
	v_add_f32_e32 v51, v51, v45
	v_add_f32_e32 v43, v151, v48
	v_fma_f32 v45, v120, s0, -v47
	v_mul_f32_e32 v48, 0x3f7ee86f, v144
	v_fmac_f32_e32 v35, 0xbf7ba420, v143
	v_add_f32_e32 v53, v53, v54
	v_mov_b32_e32 v54, v152
	v_add_f32_e32 v45, v45, v46
	v_mov_b32_e32 v46, v48
	v_add_f32_e32 v35, v35, v153
	v_fmac_f32_e32 v54, 0xbe8c1d8e, v143
	v_fmac_f32_e32 v46, 0x3dbcf732, v143
	;; [unrolled: 1-line block ×3, first 2 shown]
	v_fma_f32 v48, v143, s0, -v48
	v_add_lshl_u32 v137, v41, v42, 3
	v_add_f32_e32 v54, v54, v150
	v_add_f32_e32 v46, v46, v51
	;; [unrolled: 1-line block ×4, first 2 shown]
	ds_write2_b64 v137, v[32:33], v[34:35] offset1:17
	ds_write2_b64 v137, v[36:37], v[141:142] offset0:34 offset1:51
	ds_write2_b64 v137, v[73:74], v[65:66] offset0:68 offset1:85
	;; [unrolled: 1-line block ×7, first 2 shown]
	ds_write_b64 v137, v[121:122] offset:2176
	s_waitcnt lgkmcnt(0)
	s_barrier
	ds_read2_b64 v[56:59], v133 offset1:102
	ds_read2_b64 v[60:63], v38 offset0:33 offset1:135
	ds_read2_b64 v[64:67], v39 offset0:66 offset1:168
	;; [unrolled: 1-line block ×3, first 2 shown]
	v_add_u32_e32 v32, 0x2000, v133
	ds_read2_b64 v[72:75], v32 offset0:132 offset1:234
	v_add_u32_e32 v32, 0x2c00, v133
	ds_read2_b64 v[76:79], v32 offset0:37 offset1:139
	s_movk_i32 s0, 0x55
	v_cmp_gt_u16_e64 s[0:1], s0, v134
                                        ; implicit-def: $vgpr131
	s_and_saveexec_b64 s[2:3], s[0:1]
	s_cbranch_execz .LBB0_3
; %bb.2:
	ds_read_b64 v[123:124], v133 offset:1632
	ds_read_b64 v[129:130], v133 offset:3944
	;; [unrolled: 1-line block ×6, first 2 shown]
.LBB0_3:
	s_or_b64 exec, exec, s[2:3]
	v_add_u32_e32 v32, 0xcc, v134
	v_add_u32_e32 v33, 0xffffffab, v134
	v_mad_u64_u32 v[48:49], s[2:3], v134, 40, s[14:15]
	v_cndmask_b32_e64 v32, v33, v32, s[0:1]
	v_mul_hi_i32_i24_e32 v33, 40, v32
	v_mul_i32_i24_e32 v32, 40, v32
	v_mov_b32_e32 v34, s15
	v_add_co_u32_e64 v50, s[2:3], s14, v32
	v_addc_co_u32_e64 v51, s[2:3], v34, v33, s[2:3]
	global_load_dwordx2 v[117:118], v[48:49], off offset:2208
	global_load_dwordx4 v[40:43], v[48:49], off offset:2192
	global_load_dwordx4 v[44:47], v[48:49], off offset:2176
	;; [unrolled: 1-line block ×4, first 2 shown]
	global_load_dwordx2 v[115:116], v[50:51], off offset:2208
	v_add_co_u32_e64 v50, s[2:3], s6, v48
	s_movk_i32 s7, 0x1870
	v_addc_co_u32_e64 v51, s[2:3], 0, v49, s[2:3]
	v_add_co_u32_e64 v119, s[2:3], s7, v48
	v_addc_co_u32_e64 v120, s[2:3], 0, v49, s[2:3]
	global_load_dwordx4 v[52:55], v[50:51], off offset:2160
	s_nop 0
	global_load_dwordx4 v[48:51], v[119:120], off offset:16
	s_nop 0
	global_load_dwordx2 v[119:120], v[119:120], off offset:32
	s_waitcnt vmcnt(8) lgkmcnt(0)
	v_mul_f32_e32 v151, v76, v118
	s_waitcnt vmcnt(7)
	v_mul_f32_e32 v147, v68, v41
	s_waitcnt vmcnt(6)
	v_mul_f32_e32 v144, v65, v47
	v_mul_f32_e32 v148, v73, v43
	;; [unrolled: 1-line block ×3, first 2 shown]
	v_fma_f32 v144, v64, v46, -v144
	v_fmac_f32_e32 v147, v69, v40
	v_fma_f32 v69, v72, v42, -v148
	v_mul_f32_e32 v145, v64, v47
	v_mul_f32_e32 v149, v72, v43
	;; [unrolled: 1-line block ×3, first 2 shown]
	v_fmac_f32_e32 v151, v77, v117
	s_waitcnt vmcnt(4)
	v_mul_f32_e32 v140, v125, v37
	s_waitcnt vmcnt(1)
	v_mul_f32_e32 v158, v74, v51
	v_mul_f32_e32 v148, v66, v55
	;; [unrolled: 1-line block ×4, first 2 shown]
	v_fmac_f32_e32 v158, v75, v50
	v_add_f32_e32 v75, v144, v69
	v_fmac_f32_e32 v145, v65, v46
	v_fmac_f32_e32 v149, v73, v42
	v_fma_f32 v72, v76, v117, -v150
	v_mul_f32_e32 v76, v67, v55
	v_mul_f32_e32 v150, v70, v49
	v_fmac_f32_e32 v148, v67, v54
	v_fma_f32 v67, v70, v48, -v77
	v_fma_f32 v70, v74, v50, -v157
	v_add_f32_e32 v74, v56, v144
	v_fma_f32 v56, -0.5, v75, v56
	v_mul_f32_e32 v154, v126, v37
	v_fmac_f32_e32 v140, v126, v36
	v_fma_f32 v66, v66, v54, -v76
	v_sub_f32_e32 v75, v145, v149
	v_mov_b32_e32 v126, v56
	v_add_f32_e32 v76, v145, v149
	v_mul_f32_e32 v142, v61, v45
	v_mul_f32_e32 v139, v127, v35
	v_fma_f32 v68, v68, v40, -v146
	v_fmac_f32_e32 v126, 0x3f5db3d7, v75
	v_fmac_f32_e32 v56, 0xbf5db3d7, v75
	v_add_f32_e32 v75, v57, v145
	v_fma_f32 v57, -0.5, v76, v57
	v_mul_f32_e32 v153, v128, v35
	v_fma_f32 v142, v60, v44, -v142
	v_fmac_f32_e32 v139, v128, v34
	v_add_f32_e32 v74, v74, v69
	v_sub_f32_e32 v69, v144, v69
	v_mov_b32_e32 v128, v57
	v_add_f32_e32 v76, v68, v72
	v_mul_f32_e32 v143, v60, v45
	s_waitcnt vmcnt(0)
	v_mul_f32_e32 v160, v78, v120
	v_fmac_f32_e32 v128, 0xbf5db3d7, v69
	v_fmac_f32_e32 v57, 0x3f5db3d7, v69
	v_add_f32_e32 v69, v142, v68
	v_fmac_f32_e32 v142, -0.5, v76
	v_fmac_f32_e32 v143, v61, v44
	v_mul_f32_e32 v159, v79, v120
	v_fmac_f32_e32 v160, v79, v119
	v_sub_f32_e32 v76, v147, v151
	v_mov_b32_e32 v79, v142
	v_mul_f32_e32 v138, v129, v33
	v_fmac_f32_e32 v79, 0x3f5db3d7, v76
	v_fmac_f32_e32 v142, 0xbf5db3d7, v76
	v_add_f32_e32 v76, v143, v147
	v_mul_f32_e32 v152, v130, v33
	v_fmac_f32_e32 v138, v130, v32
	v_add_f32_e32 v130, v76, v151
	v_add_f32_e32 v76, v147, v151
	v_fmac_f32_e32 v143, -0.5, v76
	v_mul_f32_e32 v156, v132, v116
	v_mul_f32_e32 v73, v63, v53
	;; [unrolled: 1-line block ×3, first 2 shown]
	v_add_f32_e32 v69, v69, v72
	v_sub_f32_e32 v68, v68, v72
	v_mov_b32_e32 v72, v143
	v_fma_f32 v73, v62, v52, -v73
	v_fmac_f32_e32 v146, v63, v52
	v_fma_f32 v62, v131, v115, -v156
	v_mul_f32_e32 v63, v131, v116
	v_fmac_f32_e32 v72, 0xbf5db3d7, v68
	v_fmac_f32_e32 v143, 0x3f5db3d7, v68
	v_mul_f32_e32 v131, 0xbf5db3d7, v79
	v_mul_f32_e32 v68, 0x3f5db3d7, v72
	v_fmac_f32_e32 v131, 0.5, v72
	v_mul_f32_e32 v72, -0.5, v143
	v_mul_f32_e32 v141, v121, v39
	v_add_f32_e32 v75, v75, v149
	v_fmac_f32_e32 v68, 0.5, v79
	v_fmac_f32_e32 v72, 0xbf5db3d7, v142
	v_mul_f32_e32 v155, v122, v39
	v_fma_f32 v60, v129, v32, -v152
	v_fma_f32 v61, v127, v34, -v153
	v_fmac_f32_e32 v141, v122, v38
	v_fmac_f32_e32 v150, v71, v48
	v_fma_f32 v71, v78, v119, -v159
	v_add_f32_e32 v78, v126, v68
	v_mul_f32_e32 v129, -0.5, v142
	v_add_f32_e32 v77, v75, v130
	v_add_f32_e32 v122, v57, v72
	v_sub_f32_e32 v127, v126, v68
	v_sub_f32_e32 v126, v75, v130
	;; [unrolled: 1-line block ×3, first 2 shown]
	v_add_f32_e32 v57, v66, v70
	v_fmac_f32_e32 v129, 0x3f5db3d7, v143
	v_fma_f32 v57, -0.5, v57, v58
	v_fma_f32 v64, v125, v36, -v154
	v_fma_f32 v65, v121, v38, -v155
	v_add_f32_e32 v76, v74, v69
	v_add_f32_e32 v121, v56, v129
	v_sub_f32_e32 v125, v74, v69
	v_sub_f32_e32 v129, v56, v129
	v_add_f32_e32 v56, v58, v66
	v_sub_f32_e32 v58, v148, v158
	v_mov_b32_e32 v68, v57
	v_add_f32_e32 v69, v148, v158
	v_fmac_f32_e32 v68, 0x3f5db3d7, v58
	v_fmac_f32_e32 v57, 0xbf5db3d7, v58
	v_add_f32_e32 v58, v59, v148
	v_fmac_f32_e32 v59, -0.5, v69
	v_add_f32_e32 v56, v56, v70
	v_sub_f32_e32 v66, v66, v70
	v_mov_b32_e32 v69, v59
	v_add_f32_e32 v70, v67, v71
	v_fmac_f32_e32 v69, 0xbf5db3d7, v66
	v_fmac_f32_e32 v59, 0x3f5db3d7, v66
	v_add_f32_e32 v66, v73, v67
	v_fmac_f32_e32 v73, -0.5, v70
	v_sub_f32_e32 v70, v150, v160
	v_mov_b32_e32 v72, v73
	v_add_f32_e32 v74, v150, v160
	v_fmac_f32_e32 v72, 0x3f5db3d7, v70
	v_fmac_f32_e32 v73, 0xbf5db3d7, v70
	v_add_f32_e32 v70, v146, v150
	v_fmac_f32_e32 v146, -0.5, v74
	v_add_f32_e32 v66, v66, v71
	v_sub_f32_e32 v67, v67, v71
	v_mov_b32_e32 v71, v146
	v_fmac_f32_e32 v71, 0xbf5db3d7, v67
	v_fmac_f32_e32 v146, 0x3f5db3d7, v67
	v_mul_f32_e32 v67, 0x3f5db3d7, v71
	v_fmac_f32_e32 v67, 0.5, v72
	v_mul_f32_e32 v72, 0xbf5db3d7, v72
	v_fmac_f32_e32 v72, 0.5, v71
	v_mul_f32_e32 v71, -0.5, v146
	v_fmac_f32_e32 v71, 0xbf5db3d7, v73
	v_fmac_f32_e32 v63, v132, v115
	v_mul_f32_e32 v74, -0.5, v73
	v_add_f32_e32 v145, v59, v71
	v_sub_f32_e32 v151, v59, v71
	v_add_f32_e32 v59, v64, v62
	v_fmac_f32_e32 v74, 0x3f5db3d7, v146
	v_fma_f32 v71, -0.5, v59, v60
	v_add_f32_e32 v59, v140, v63
	v_add_f32_e32 v142, v68, v67
	;; [unrolled: 1-line block ×3, first 2 shown]
	v_sub_f32_e32 v148, v68, v67
	v_sub_f32_e32 v150, v57, v74
	;; [unrolled: 1-line block ×3, first 2 shown]
	v_mov_b32_e32 v68, v71
	v_fma_f32 v74, -0.5, v59, v138
	v_add_f32_e32 v79, v128, v131
	v_sub_f32_e32 v128, v128, v131
	v_add_f32_e32 v58, v58, v158
	v_add_f32_e32 v70, v70, v160
	;; [unrolled: 1-line block ×3, first 2 shown]
	v_sub_f32_e32 v146, v56, v66
	v_add_f32_e32 v56, v61, v65
	v_add_f32_e32 v57, v139, v141
	v_fmac_f32_e32 v68, 0xbf5db3d7, v73
	v_sub_f32_e32 v75, v64, v62
	v_mov_b32_e32 v66, v74
	v_add_f32_e32 v132, v58, v70
	v_sub_f32_e32 v147, v58, v70
	v_fma_f32 v58, -0.5, v56, v123
	v_fma_f32 v67, -0.5, v57, v124
	v_fmac_f32_e32 v66, 0x3f5db3d7, v75
	v_mul_f32_e32 v59, -0.5, v68
	v_add_f32_e32 v143, v69, v72
	v_sub_f32_e32 v149, v69, v72
	v_sub_f32_e32 v70, v139, v141
	v_mov_b32_e32 v56, v58
	v_sub_f32_e32 v72, v61, v65
	v_mov_b32_e32 v57, v67
	v_fmac_f32_e32 v59, 0x3f5db3d7, v66
	v_mul_f32_e32 v66, -0.5, v66
	v_fmac_f32_e32 v56, 0xbf5db3d7, v70
	v_fmac_f32_e32 v57, 0x3f5db3d7, v72
	v_fmac_f32_e32 v66, 0xbf5db3d7, v68
	v_sub_f32_e32 v68, v56, v59
	v_sub_f32_e32 v69, v57, v66
	ds_write_b64 v133, v[78:79] offset:2312
	ds_write_b64 v133, v[121:122] offset:4624
	;; [unrolled: 1-line block ×5, first 2 shown]
	ds_write2_b64 v133, v[76:77], v[131:132] offset1:102
	ds_write_b64 v133, v[142:143] offset:3128
	ds_write_b64 v133, v[144:145] offset:5440
	;; [unrolled: 1-line block ×5, first 2 shown]
	s_and_saveexec_b64 s[2:3], s[0:1]
	s_cbranch_execz .LBB0_5
; %bb.4:
	v_mul_f32_e32 v73, 0x3f5db3d7, v73
	v_mul_f32_e32 v72, 0x3f5db3d7, v72
	;; [unrolled: 1-line block ×3, first 2 shown]
	v_add_f32_e32 v73, v73, v71
	v_sub_f32_e32 v67, v67, v72
	v_sub_f32_e32 v72, v74, v75
	v_mul_f32_e32 v71, 0x3f5db3d7, v73
	v_add_f32_e32 v75, v124, v139
	v_add_f32_e32 v76, v138, v140
	;; [unrolled: 1-line block ×4, first 2 shown]
	v_mul_f32_e32 v70, 0x3f5db3d7, v70
	v_fma_f32 v74, v72, 0.5, -v71
	v_add_f32_e32 v75, v75, v141
	v_add_f32_e32 v76, v76, v63
	v_mul_f32_e32 v72, 0x3f5db3d7, v72
	v_add_f32_e32 v61, v61, v65
	v_add_f32_e32 v64, v60, v62
	;; [unrolled: 1-line block ×3, first 2 shown]
	v_fmac_f32_e32 v72, 0.5, v73
	v_sub_f32_e32 v62, v61, v64
	v_add_f32_e32 v65, v75, v76
	v_add_f32_e32 v64, v61, v64
	v_sub_f32_e32 v71, v67, v74
	v_sub_f32_e32 v63, v75, v76
	;; [unrolled: 1-line block ×3, first 2 shown]
	v_add_f32_e32 v57, v57, v66
	v_add_f32_e32 v60, v67, v74
	v_add_f32_e32 v56, v56, v59
	v_add_f32_e32 v59, v58, v72
	ds_write_b64 v133, v[64:65] offset:1632
	ds_write_b64 v133, v[59:60] offset:3944
	;; [unrolled: 1-line block ×6, first 2 shown]
.LBB0_5:
	s_or_b64 exec, exec, s[2:3]
	v_mov_b32_e32 v56, s13
	v_addc_co_u32_e32 v65, vcc, 0, v56, vcc
	v_add_co_u32_e32 v56, vcc, 0x3630, v135
	s_mov_b64 s[2:3], vcc
	v_add_co_u32_e32 v57, vcc, 0x3000, v135
	v_addc_co_u32_e32 v58, vcc, 0, v65, vcc
	s_waitcnt lgkmcnt(0)
	s_barrier
	global_load_dwordx2 v[60:61], v[57:58], off offset:1584
	v_addc_co_u32_e64 v57, vcc, 0, v65, s[2:3]
	global_load_dwordx2 v[62:63], v[56:57], off offset:816
	global_load_dwordx2 v[70:71], v[56:57], off offset:1632
	;; [unrolled: 1-line block ×4, first 2 shown]
	s_movk_i32 s2, 0x4000
	v_add_co_u32_e32 v58, vcc, s2, v135
	v_addc_co_u32_e32 v59, vcc, 0, v65, vcc
	global_load_dwordx2 v[125:126], v[58:59], off offset:2384
	global_load_dwordx2 v[127:128], v[58:59], off offset:3200
	;; [unrolled: 1-line block ×4, first 2 shown]
	s_movk_i32 s2, 0x5000
	v_add_co_u32_e32 v56, vcc, s2, v135
	v_addc_co_u32_e32 v57, vcc, 0, v65, vcc
	global_load_dwordx2 v[138:139], v[56:57], off offset:736
	global_load_dwordx2 v[140:141], v[56:57], off offset:1552
	;; [unrolled: 1-line block ×5, first 2 shown]
	s_movk_i32 s2, 0x6000
	v_add_co_u32_e32 v64, vcc, s2, v135
	v_addc_co_u32_e32 v65, vcc, 0, v65, vcc
	global_load_dwordx2 v[148:149], v[64:65], off offset:720
	ds_read2_b64 v[56:59], v133 offset1:102
	global_load_dwordx2 v[150:151], v[64:65], off offset:1536
	global_load_dwordx2 v[152:153], v[64:65], off offset:2352
	v_add_u32_e32 v75, 0x400, v133
	v_add_u32_e32 v73, 0x800, v133
	;; [unrolled: 1-line block ×4, first 2 shown]
	s_mov_b32 s12, 0x3f6eb680
	s_mov_b32 s6, 0x3f3d2fb0
	;; [unrolled: 1-line block ×8, first 2 shown]
	s_waitcnt vmcnt(15) lgkmcnt(0)
	v_mul_f32_e32 v66, v59, v63
	v_mul_f32_e32 v65, v57, v61
	;; [unrolled: 1-line block ×4, first 2 shown]
	v_fma_f32 v63, v56, v60, -v65
	v_fmac_f32_e32 v64, v57, v60
	v_fma_f32 v60, v58, v62, -v66
	v_fmac_f32_e32 v61, v59, v62
	ds_write2_b64 v133, v[63:64], v[60:61] offset1:102
	ds_read2_b64 v[56:59], v75 offset0:76 offset1:178
	ds_read2_b64 v[60:63], v73 offset0:152 offset1:254
	ds_read2_b64 v[64:67], v72 offset0:100 offset1:202
	ds_read2_b64 v[76:79], v74 offset0:48 offset1:150
	s_waitcnt vmcnt(12) lgkmcnt(2)
	v_mul_f32_e32 v157, v61, v124
	v_mul_f32_e32 v135, v57, v71
	;; [unrolled: 1-line block ×6, first 2 shown]
	s_waitcnt vmcnt(9)
	v_mul_f32_e32 v158, v63, v130
	v_mul_f32_e32 v124, v62, v130
	s_waitcnt lgkmcnt(1)
	v_mul_f32_e32 v159, v65, v126
	v_mul_f32_e32 v130, v64, v126
	;; [unrolled: 1-line block ×4, first 2 shown]
	s_waitcnt vmcnt(8) lgkmcnt(0)
	v_mul_f32_e32 v128, v77, v132
	v_fma_f32 v154, v56, v70, -v135
	v_fmac_f32_e32 v155, v57, v70
	v_fma_f32 v70, v58, v121, -v156
	v_fmac_f32_e32 v71, v59, v121
	;; [unrolled: 2-line block ×6, first 2 shown]
	ds_write2_b64 v75, v[154:155], v[70:71] offset0:76 offset1:178
	ds_write2_b64 v73, v[121:122], v[123:124] offset0:152 offset1:254
	;; [unrolled: 1-line block ×3, first 2 shown]
	v_fma_f32 v60, v76, v131, -v128
	v_mul_f32_e32 v61, v76, v132
	v_add_u32_e32 v76, 0x1c00, v133
	ds_read2_b64 v[56:59], v76 offset0:124 offset1:226
	s_waitcnt vmcnt(7)
	v_mul_f32_e32 v62, v79, v139
	v_mul_f32_e32 v63, v78, v139
	v_fmac_f32_e32 v61, v77, v131
	v_fma_f32 v62, v78, v138, -v62
	v_fmac_f32_e32 v63, v79, v138
	ds_write2_b64 v74, v[60:61], v[62:63] offset0:48 offset1:150
	s_waitcnt vmcnt(6) lgkmcnt(1)
	v_mul_f32_e32 v60, v57, v141
	v_add_u32_e32 v77, 0x2400, v133
	v_fma_f32 v64, v56, v140, -v60
	ds_read2_b64 v[60:63], v77 offset0:72 offset1:174
	v_mul_f32_e32 v65, v56, v141
	v_fmac_f32_e32 v65, v57, v140
	s_waitcnt vmcnt(5)
	v_mul_f32_e32 v56, v59, v143
	v_mul_f32_e32 v57, v58, v143
	v_fma_f32 v56, v58, v142, -v56
	v_fmac_f32_e32 v57, v59, v142
	ds_write2_b64 v76, v[64:65], v[56:57] offset0:124 offset1:226
	s_waitcnt vmcnt(4) lgkmcnt(1)
	v_mul_f32_e32 v56, v61, v145
	v_add_u32_e32 v78, 0x2800, v133
	v_fma_f32 v64, v60, v144, -v56
	ds_read2_b64 v[56:59], v78 offset0:148 offset1:250
	v_mul_f32_e32 v65, v60, v145
	v_fmac_f32_e32 v65, v61, v144
	s_waitcnt vmcnt(3)
	v_mul_f32_e32 v60, v63, v147
	v_mul_f32_e32 v61, v62, v147
	v_fma_f32 v60, v62, v146, -v60
	v_fmac_f32_e32 v61, v63, v146
	ds_write2_b64 v77, v[64:65], v[60:61] offset0:72 offset1:174
	s_waitcnt vmcnt(2) lgkmcnt(1)
	v_mul_f32_e32 v60, v57, v149
	v_mul_f32_e32 v61, v56, v149
	v_fma_f32 v60, v56, v148, -v60
	v_fmac_f32_e32 v61, v57, v148
	ds_read_b64 v[56:57], v133 offset:13056
	s_waitcnt vmcnt(1)
	v_mul_f32_e32 v62, v59, v151
	v_mul_f32_e32 v63, v58, v151
	v_fma_f32 v62, v58, v150, -v62
	v_fmac_f32_e32 v63, v59, v150
	s_waitcnt vmcnt(0) lgkmcnt(0)
	v_mul_f32_e32 v58, v57, v153
	v_mul_f32_e32 v59, v56, v153
	v_fma_f32 v58, v56, v152, -v58
	v_fmac_f32_e32 v59, v57, v152
	ds_write2_b64 v78, v[60:61], v[62:63] offset0:148 offset1:250
	ds_write_b64 v133, v[58:59] offset:13056
	s_waitcnt lgkmcnt(0)
	s_barrier
	ds_read2_b64 v[121:124], v133 offset1:102
	ds_read2_b64 v[125:128], v75 offset0:76 offset1:178
	ds_read2_b64 v[129:132], v73 offset0:152 offset1:254
	;; [unrolled: 1-line block ×7, first 2 shown]
	ds_read_b64 v[146:147], v133 offset:13056
	s_waitcnt lgkmcnt(8)
	v_add_f32_e32 v70, v121, v123
	v_add_f32_e32 v71, v122, v124
	s_waitcnt lgkmcnt(7)
	v_add_f32_e32 v70, v70, v125
	v_add_f32_e32 v71, v71, v126
	v_add_f32_e32 v70, v70, v127
	v_add_f32_e32 v71, v71, v128
	s_waitcnt lgkmcnt(6)
	v_add_f32_e32 v70, v70, v129
	v_add_f32_e32 v71, v71, v130
	;; [unrolled: 5-line block ×7, first 2 shown]
	v_add_f32_e32 v70, v70, v144
	s_waitcnt lgkmcnt(0)
	v_add_f32_e32 v135, v147, v124
	v_sub_f32_e32 v124, v124, v147
	v_add_f32_e32 v71, v71, v145
	v_add_f32_e32 v70, v70, v146
	;; [unrolled: 1-line block ×3, first 2 shown]
	v_sub_f32_e32 v123, v123, v146
	v_mul_f32_e32 v146, 0xbeb8f4ab, v124
	v_mul_f32_e32 v148, 0x3f6eb680, v135
	;; [unrolled: 1-line block ×16, first 2 shown]
	v_add_f32_e32 v71, v71, v147
	v_mov_b32_e32 v147, v146
	v_mov_b32_e32 v149, v148
	;; [unrolled: 1-line block ×16, first 2 shown]
	v_fmac_f32_e32 v147, 0x3f6eb680, v79
	v_fmac_f32_e32 v149, 0x3eb8f4ab, v123
	v_fma_f32 v146, v79, s12, -v146
	v_fmac_f32_e32 v148, 0xbeb8f4ab, v123
	v_fmac_f32_e32 v151, 0x3f3d2fb0, v79
	v_fmac_f32_e32 v153, 0x3f2c7751, v123
	v_fma_f32 v150, v79, s6, -v150
	v_fmac_f32_e32 v152, 0xbf2c7751, v123
	;; [unrolled: 4-line block ×8, first 2 shown]
	v_add_f32_e32 v147, v121, v147
	v_add_f32_e32 v149, v122, v149
	;; [unrolled: 1-line block ×33, first 2 shown]
	v_sub_f32_e32 v124, v125, v144
	v_sub_f32_e32 v125, v126, v145
	v_add_f32_e32 v123, v145, v126
	v_mul_f32_e32 v126, 0xbf2c7751, v125
	v_mov_b32_e32 v135, v126
	v_fma_f32 v126, v122, s6, -v126
	v_fmac_f32_e32 v135, 0x3f3d2fb0, v122
	v_mul_f32_e32 v144, 0x3f3d2fb0, v123
	v_add_f32_e32 v126, v126, v146
	v_mul_f32_e32 v146, 0xbf7ee86f, v125
	v_add_f32_e32 v135, v135, v147
	v_mov_b32_e32 v145, v144
	v_fmac_f32_e32 v144, 0xbf2c7751, v124
	v_mov_b32_e32 v147, v146
	v_fma_f32 v146, v122, s2, -v146
	v_fmac_f32_e32 v145, 0x3f2c7751, v124
	v_add_f32_e32 v144, v144, v148
	v_fmac_f32_e32 v147, 0x3dbcf732, v122
	v_mul_f32_e32 v148, 0x3dbcf732, v123
	v_add_f32_e32 v146, v146, v150
	v_mul_f32_e32 v150, 0xbf4c4adb, v125
	v_add_f32_e32 v145, v145, v149
	v_add_f32_e32 v147, v147, v151
	v_mov_b32_e32 v149, v148
	v_fmac_f32_e32 v148, 0xbf7ee86f, v124
	v_mov_b32_e32 v151, v150
	v_fma_f32 v150, v122, s13, -v150
	v_fmac_f32_e32 v149, 0x3f7ee86f, v124
	v_add_f32_e32 v148, v148, v152
	v_fmac_f32_e32 v151, 0xbf1a4643, v122
	v_mul_f32_e32 v152, 0xbf1a4643, v123
	v_add_f32_e32 v150, v150, v154
	v_mul_f32_e32 v154, 0xbe3c28d5, v125
	v_add_f32_e32 v149, v149, v153
	;; [unrolled: 12-line block ×5, first 2 shown]
	v_add_f32_e32 v163, v163, v167
	v_mov_b32_e32 v165, v164
	v_fmac_f32_e32 v164, 0x3f763a35, v124
	v_mov_b32_e32 v167, v166
	v_fma_f32 v166, v122, s3, -v166
	v_mul_f32_e32 v125, 0x3eb8f4ab, v125
	v_fmac_f32_e32 v165, 0xbf763a35, v124
	v_add_f32_e32 v164, v164, v168
	v_fmac_f32_e32 v167, 0x3ee437d1, v122
	v_mul_f32_e32 v168, 0x3ee437d1, v123
	v_add_f32_e32 v166, v166, v170
	v_mov_b32_e32 v170, v125
	v_mul_f32_e32 v123, 0x3f6eb680, v123
	v_add_f32_e32 v165, v165, v169
	v_add_f32_e32 v167, v167, v171
	v_mov_b32_e32 v169, v168
	v_fmac_f32_e32 v170, 0x3f6eb680, v122
	v_mov_b32_e32 v171, v123
	v_fma_f32 v122, v122, s12, -v125
	v_sub_f32_e32 v125, v128, v143
	v_fmac_f32_e32 v169, 0xbf65296c, v124
	v_fmac_f32_e32 v168, 0x3f65296c, v124
	;; [unrolled: 1-line block ×3, first 2 shown]
	v_add_f32_e32 v79, v122, v79
	v_fmac_f32_e32 v123, 0x3eb8f4ab, v124
	v_add_f32_e32 v122, v142, v127
	v_sub_f32_e32 v124, v127, v142
	v_mul_f32_e32 v127, 0xbf65296c, v125
	v_add_f32_e32 v121, v123, v121
	v_add_f32_e32 v123, v143, v128
	v_mov_b32_e32 v128, v127
	v_fmac_f32_e32 v128, 0x3ee437d1, v122
	v_add_f32_e32 v128, v128, v135
	v_mul_f32_e32 v135, 0x3ee437d1, v123
	v_mov_b32_e32 v142, v135
	v_fma_f32 v127, v122, s3, -v127
	v_fmac_f32_e32 v135, 0xbf65296c, v124
	v_add_f32_e32 v126, v127, v126
	v_add_f32_e32 v127, v135, v144
	v_mul_f32_e32 v135, 0xbf4c4adb, v125
	v_mov_b32_e32 v143, v135
	v_fma_f32 v135, v122, s13, -v135
	v_fmac_f32_e32 v142, 0x3f65296c, v124
	v_fmac_f32_e32 v143, 0xbf1a4643, v122
	v_mul_f32_e32 v144, 0xbf1a4643, v123
	v_add_f32_e32 v135, v135, v146
	v_mul_f32_e32 v146, 0x3e3c28d5, v125
	v_add_f32_e32 v142, v142, v145
	v_add_f32_e32 v143, v143, v147
	v_mov_b32_e32 v145, v144
	v_fmac_f32_e32 v144, 0xbf4c4adb, v124
	v_mov_b32_e32 v147, v146
	v_fma_f32 v146, v122, s15, -v146
	v_fmac_f32_e32 v145, 0x3f4c4adb, v124
	v_add_f32_e32 v144, v144, v148
	v_fmac_f32_e32 v147, 0xbf7ba420, v122
	v_mul_f32_e32 v148, 0xbf7ba420, v123
	v_add_f32_e32 v146, v146, v150
	v_mul_f32_e32 v150, 0x3f763a35, v125
	v_add_f32_e32 v145, v145, v149
	v_add_f32_e32 v147, v147, v151
	v_mov_b32_e32 v149, v148
	v_fmac_f32_e32 v148, 0x3e3c28d5, v124
	v_mov_b32_e32 v151, v150
	v_fma_f32 v150, v122, s7, -v150
	v_fmac_f32_e32 v149, 0xbe3c28d5, v124
	v_add_f32_e32 v148, v148, v152
	;; [unrolled: 12-line block ×4, first 2 shown]
	v_fmac_f32_e32 v159, 0x3f6eb680, v122
	v_mul_f32_e32 v160, 0x3f6eb680, v123
	v_add_f32_e32 v158, v158, v162
	v_mul_f32_e32 v162, 0xbf7ee86f, v125
	v_add_f32_e32 v157, v157, v161
	v_add_f32_e32 v159, v159, v163
	v_mov_b32_e32 v161, v160
	v_fmac_f32_e32 v160, 0xbeb8f4ab, v124
	v_mov_b32_e32 v163, v162
	v_fma_f32 v162, v122, s2, -v162
	v_mul_f32_e32 v125, 0xbf06c442, v125
	v_fmac_f32_e32 v161, 0x3eb8f4ab, v124
	v_add_f32_e32 v160, v160, v164
	v_fmac_f32_e32 v163, 0x3dbcf732, v122
	v_mul_f32_e32 v164, 0x3dbcf732, v123
	v_add_f32_e32 v162, v162, v166
	v_mov_b32_e32 v166, v125
	v_mul_f32_e32 v123, 0xbf59a7d5, v123
	v_add_f32_e32 v161, v161, v165
	v_add_f32_e32 v163, v163, v167
	v_mov_b32_e32 v165, v164
	v_fmac_f32_e32 v166, 0xbf59a7d5, v122
	v_mov_b32_e32 v167, v123
	v_fma_f32 v122, v122, s14, -v125
	v_sub_f32_e32 v125, v130, v141
	v_fmac_f32_e32 v165, 0x3f7ee86f, v124
	v_fmac_f32_e32 v164, 0xbf7ee86f, v124
	;; [unrolled: 1-line block ×3, first 2 shown]
	v_add_f32_e32 v79, v122, v79
	v_fmac_f32_e32 v123, 0xbf06c442, v124
	v_add_f32_e32 v122, v140, v129
	v_sub_f32_e32 v124, v129, v140
	v_mul_f32_e32 v129, 0xbf7ee86f, v125
	v_add_f32_e32 v121, v123, v121
	v_add_f32_e32 v123, v141, v130
	v_mov_b32_e32 v130, v129
	v_fmac_f32_e32 v130, 0x3dbcf732, v122
	v_add_f32_e32 v128, v130, v128
	v_mul_f32_e32 v130, 0x3dbcf732, v123
	v_mov_b32_e32 v140, v130
	v_fma_f32 v129, v122, s2, -v129
	v_fmac_f32_e32 v140, 0x3f7ee86f, v124
	v_add_f32_e32 v126, v129, v126
	v_fmac_f32_e32 v130, 0xbf7ee86f, v124
	v_mul_f32_e32 v129, 0xbe3c28d5, v125
	v_mul_f32_e32 v141, 0xbf7ba420, v123
	v_add_f32_e32 v140, v140, v142
	v_add_f32_e32 v127, v130, v127
	v_mov_b32_e32 v130, v129
	v_mov_b32_e32 v142, v141
	v_fma_f32 v129, v122, s15, -v129
	v_fmac_f32_e32 v141, 0xbe3c28d5, v124
	v_fmac_f32_e32 v130, 0xbf7ba420, v122
	v_add_f32_e32 v129, v129, v135
	v_add_f32_e32 v135, v141, v144
	v_mul_f32_e32 v141, 0x3f763a35, v125
	v_add_f32_e32 v130, v130, v143
	v_mov_b32_e32 v143, v141
	v_fma_f32 v141, v122, s7, -v141
	v_fmac_f32_e32 v142, 0x3e3c28d5, v124
	v_fmac_f32_e32 v143, 0xbe8c1d8e, v122
	v_mul_f32_e32 v144, 0xbe8c1d8e, v123
	v_add_f32_e32 v141, v141, v146
	v_mul_f32_e32 v146, 0x3eb8f4ab, v125
	v_add_f32_e32 v142, v142, v145
	v_add_f32_e32 v143, v143, v147
	v_mov_b32_e32 v145, v144
	v_fmac_f32_e32 v144, 0x3f763a35, v124
	v_mov_b32_e32 v147, v146
	v_fma_f32 v146, v122, s12, -v146
	v_fmac_f32_e32 v145, 0xbf763a35, v124
	v_add_f32_e32 v144, v144, v148
	v_fmac_f32_e32 v147, 0x3f6eb680, v122
	v_mul_f32_e32 v148, 0x3f6eb680, v123
	v_add_f32_e32 v146, v146, v150
	v_mul_f32_e32 v150, 0xbf65296c, v125
	v_add_f32_e32 v145, v145, v149
	v_add_f32_e32 v147, v147, v151
	v_mov_b32_e32 v149, v148
	v_fmac_f32_e32 v148, 0x3eb8f4ab, v124
	v_mov_b32_e32 v151, v150
	v_fma_f32 v150, v122, s3, -v150
	v_fmac_f32_e32 v149, 0xbeb8f4ab, v124
	v_add_f32_e32 v148, v148, v152
	;; [unrolled: 12-line block ×3, first 2 shown]
	v_fmac_f32_e32 v155, 0xbf59a7d5, v122
	v_mul_f32_e32 v156, 0xbf59a7d5, v123
	v_add_f32_e32 v154, v154, v158
	v_mul_f32_e32 v158, 0x3f4c4adb, v125
	v_add_f32_e32 v153, v153, v157
	v_add_f32_e32 v155, v155, v159
	v_mov_b32_e32 v157, v156
	v_fmac_f32_e32 v156, 0xbf06c442, v124
	v_mov_b32_e32 v159, v158
	v_fma_f32 v158, v122, s13, -v158
	v_mul_f32_e32 v125, 0x3f2c7751, v125
	v_fmac_f32_e32 v157, 0x3f06c442, v124
	v_add_f32_e32 v156, v156, v160
	v_fmac_f32_e32 v159, 0xbf1a4643, v122
	v_mul_f32_e32 v160, 0xbf1a4643, v123
	v_add_f32_e32 v158, v158, v162
	v_mov_b32_e32 v162, v125
	v_mul_f32_e32 v123, 0x3f3d2fb0, v123
	v_add_f32_e32 v157, v157, v161
	v_add_f32_e32 v159, v159, v163
	v_mov_b32_e32 v161, v160
	v_fmac_f32_e32 v162, 0x3f3d2fb0, v122
	v_mov_b32_e32 v163, v123
	v_fma_f32 v122, v122, s6, -v125
	v_sub_f32_e32 v125, v132, v139
	v_fmac_f32_e32 v161, 0xbf4c4adb, v124
	v_fmac_f32_e32 v160, 0x3f4c4adb, v124
	v_fmac_f32_e32 v163, 0xbf2c7751, v124
	v_add_f32_e32 v79, v122, v79
	v_fmac_f32_e32 v123, 0x3f2c7751, v124
	v_add_f32_e32 v122, v138, v131
	v_sub_f32_e32 v124, v131, v138
	v_mul_f32_e32 v131, 0xbf763a35, v125
	v_add_f32_e32 v121, v123, v121
	v_add_f32_e32 v123, v139, v132
	v_mov_b32_e32 v132, v131
	v_fmac_f32_e32 v132, 0xbe8c1d8e, v122
	v_add_f32_e32 v128, v132, v128
	v_mul_f32_e32 v132, 0xbe8c1d8e, v123
	v_fma_f32 v131, v122, s7, -v131
	v_mov_b32_e32 v138, v132
	v_add_f32_e32 v126, v131, v126
	v_fmac_f32_e32 v132, 0xbf763a35, v124
	v_mul_f32_e32 v131, 0x3f06c442, v125
	v_add_f32_e32 v127, v132, v127
	v_mov_b32_e32 v132, v131
	v_fmac_f32_e32 v132, 0xbf59a7d5, v122
	v_add_f32_e32 v130, v132, v130
	v_mul_f32_e32 v132, 0xbf59a7d5, v123
	v_mov_b32_e32 v139, v132
	v_fma_f32 v131, v122, s14, -v131
	v_fmac_f32_e32 v132, 0x3f06c442, v124
	v_add_f32_e32 v129, v131, v129
	v_add_f32_e32 v131, v132, v135
	v_mul_f32_e32 v132, 0x3f2c7751, v125
	v_fmac_f32_e32 v138, 0x3f763a35, v124
	v_mov_b32_e32 v135, v132
	v_fma_f32 v132, v122, s6, -v132
	v_add_f32_e32 v138, v138, v140
	v_fmac_f32_e32 v139, 0xbf06c442, v124
	v_fmac_f32_e32 v135, 0x3f3d2fb0, v122
	v_mul_f32_e32 v140, 0x3f3d2fb0, v123
	v_add_f32_e32 v132, v132, v141
	v_mul_f32_e32 v141, 0xbf65296c, v125
	v_add_f32_e32 v139, v139, v142
	v_add_f32_e32 v135, v135, v143
	v_mov_b32_e32 v142, v140
	v_fmac_f32_e32 v140, 0x3f2c7751, v124
	v_mov_b32_e32 v143, v141
	v_fma_f32 v141, v122, s3, -v141
	v_fmac_f32_e32 v142, 0xbf2c7751, v124
	v_add_f32_e32 v140, v140, v144
	v_fmac_f32_e32 v143, 0x3ee437d1, v122
	v_mul_f32_e32 v144, 0x3ee437d1, v123
	v_add_f32_e32 v141, v141, v146
	v_mul_f32_e32 v146, 0xbe3c28d5, v125
	v_add_f32_e32 v142, v142, v145
	v_add_f32_e32 v143, v143, v147
	v_mov_b32_e32 v145, v144
	v_fmac_f32_e32 v144, 0xbf65296c, v124
	v_mov_b32_e32 v147, v146
	v_fma_f32 v146, v122, s15, -v146
	v_fmac_f32_e32 v145, 0x3f65296c, v124
	v_add_f32_e32 v144, v144, v148
	;; [unrolled: 12-line block ×3, first 2 shown]
	v_fmac_f32_e32 v151, 0x3dbcf732, v122
	v_mul_f32_e32 v152, 0x3dbcf732, v123
	v_add_f32_e32 v150, v150, v154
	v_mul_f32_e32 v154, 0xbeb8f4ab, v125
	v_add_f32_e32 v149, v149, v153
	v_add_f32_e32 v151, v151, v155
	v_mov_b32_e32 v153, v152
	v_fmac_f32_e32 v152, 0x3f7ee86f, v124
	v_mov_b32_e32 v155, v154
	v_add_f32_e32 v152, v152, v156
	v_fmac_f32_e32 v155, 0x3f6eb680, v122
	v_mul_f32_e32 v156, 0x3f6eb680, v123
	v_fma_f32 v154, v122, s12, -v154
	v_mul_f32_e32 v125, 0xbf4c4adb, v125
	v_mul_f32_e32 v123, 0xbf1a4643, v123
	v_add_f32_e32 v155, v155, v159
	v_add_f32_e32 v154, v154, v158
	v_mov_b32_e32 v158, v125
	v_mov_b32_e32 v159, v123
	v_fmac_f32_e32 v123, 0xbf4c4adb, v124
	v_fmac_f32_e32 v153, 0xbf7ee86f, v124
	;; [unrolled: 1-line block ×3, first 2 shown]
	v_fma_f32 v122, v122, s13, -v125
	v_add_f32_e32 v121, v123, v121
	v_add_f32_e32 v123, v67, v61
	v_sub_f32_e32 v61, v61, v67
	v_add_f32_e32 v153, v153, v157
	v_mov_b32_e32 v157, v156
	v_add_f32_e32 v79, v122, v79
	v_add_f32_e32 v122, v66, v60
	v_sub_f32_e32 v60, v60, v66
	v_mul_f32_e32 v66, 0xbf4c4adb, v61
	v_fmac_f32_e32 v157, 0x3eb8f4ab, v124
	v_fmac_f32_e32 v156, 0xbeb8f4ab, v124
	;; [unrolled: 1-line block ×3, first 2 shown]
	v_mov_b32_e32 v67, v66
	v_mul_f32_e32 v124, 0xbf1a4643, v123
	v_fma_f32 v66, v122, s13, -v66
	v_mov_b32_e32 v125, v124
	v_add_f32_e32 v66, v66, v126
	v_fmac_f32_e32 v124, 0xbf4c4adb, v60
	v_mul_f32_e32 v126, 0x3f763a35, v61
	v_fmac_f32_e32 v67, 0xbf1a4643, v122
	v_add_f32_e32 v124, v124, v127
	v_mov_b32_e32 v127, v126
	v_add_f32_e32 v67, v67, v128
	v_fmac_f32_e32 v127, 0xbe8c1d8e, v122
	v_mul_f32_e32 v128, 0xbe8c1d8e, v123
	v_fma_f32 v126, v122, s7, -v126
	v_add_f32_e32 v127, v127, v130
	v_mov_b32_e32 v130, v128
	v_add_f32_e32 v126, v126, v129
	v_fmac_f32_e32 v128, 0x3f763a35, v60
	v_mul_f32_e32 v129, 0xbeb8f4ab, v61
	v_add_f32_e32 v128, v128, v131
	v_mov_b32_e32 v131, v129
	v_fmac_f32_e32 v131, 0x3f6eb680, v122
	v_fmac_f32_e32 v125, 0x3f4c4adb, v60
	v_add_f32_e32 v131, v131, v135
	v_mul_f32_e32 v135, 0x3f6eb680, v123
	v_add_f32_e32 v125, v125, v138
	v_mov_b32_e32 v138, v135
	v_fma_f32 v129, v122, s12, -v129
	v_fmac_f32_e32 v135, 0xbeb8f4ab, v60
	v_fmac_f32_e32 v130, 0xbf763a35, v60
	v_add_f32_e32 v129, v129, v132
	v_add_f32_e32 v132, v135, v140
	v_mul_f32_e32 v135, 0xbf06c442, v61
	v_add_f32_e32 v130, v130, v139
	v_mov_b32_e32 v139, v135
	v_fma_f32 v135, v122, s14, -v135
	v_fmac_f32_e32 v138, 0x3eb8f4ab, v60
	v_fmac_f32_e32 v139, 0xbf59a7d5, v122
	v_mul_f32_e32 v140, 0xbf59a7d5, v123
	v_add_f32_e32 v135, v135, v141
	v_mul_f32_e32 v141, 0x3f7ee86f, v61
	v_add_f32_e32 v138, v138, v142
	v_add_f32_e32 v139, v139, v143
	v_mov_b32_e32 v142, v140
	v_fmac_f32_e32 v140, 0xbf06c442, v60
	v_mov_b32_e32 v143, v141
	v_fma_f32 v141, v122, s2, -v141
	v_fmac_f32_e32 v142, 0x3f06c442, v60
	v_add_f32_e32 v140, v140, v144
	v_fmac_f32_e32 v143, 0x3dbcf732, v122
	v_mul_f32_e32 v144, 0x3dbcf732, v123
	v_add_f32_e32 v141, v141, v146
	v_mul_f32_e32 v146, 0xbf2c7751, v61
	v_add_f32_e32 v142, v142, v145
	v_add_f32_e32 v143, v143, v147
	v_mov_b32_e32 v145, v144
	v_fmac_f32_e32 v144, 0x3f7ee86f, v60
	v_mov_b32_e32 v147, v146
	v_fma_f32 v146, v122, s6, -v146
	v_fmac_f32_e32 v145, 0xbf7ee86f, v60
	v_add_f32_e32 v144, v144, v148
	v_fmac_f32_e32 v147, 0x3f3d2fb0, v122
	v_mul_f32_e32 v148, 0x3f3d2fb0, v123
	v_add_f32_e32 v146, v146, v150
	v_mul_f32_e32 v150, 0xbe3c28d5, v61
	v_add_f32_e32 v145, v145, v149
	v_add_f32_e32 v147, v147, v151
	v_mov_b32_e32 v149, v148
	v_fmac_f32_e32 v148, 0xbf2c7751, v60
	v_mov_b32_e32 v151, v150
	v_fmac_f32_e32 v149, 0x3f2c7751, v60
	v_add_f32_e32 v148, v148, v152
	v_fmac_f32_e32 v151, 0xbf7ba420, v122
	v_mul_f32_e32 v152, 0xbf7ba420, v123
	v_mul_f32_e32 v123, 0x3ee437d1, v123
	v_add_f32_e32 v149, v149, v153
	v_add_f32_e32 v151, v151, v155
	v_mov_b32_e32 v153, v152
	v_fma_f32 v150, v122, s15, -v150
	v_mul_f32_e32 v61, 0x3f65296c, v61
	v_mov_b32_e32 v155, v123
	v_fmac_f32_e32 v123, 0x3f65296c, v60
	v_fmac_f32_e32 v153, 0x3e3c28d5, v60
	v_add_f32_e32 v150, v150, v154
	v_fmac_f32_e32 v152, 0xbe3c28d5, v60
	v_mov_b32_e32 v154, v61
	v_fmac_f32_e32 v155, 0xbf65296c, v60
	v_fma_f32 v61, v122, s3, -v61
	v_add_f32_e32 v60, v123, v121
	v_add_f32_e32 v121, v65, v63
	v_sub_f32_e32 v63, v63, v65
	v_add_f32_e32 v61, v61, v79
	v_add_f32_e32 v79, v64, v62
	v_sub_f32_e32 v62, v62, v64
	v_mul_f32_e32 v64, 0xbf06c442, v63
	v_mov_b32_e32 v65, v64
	v_fmac_f32_e32 v65, 0xbf59a7d5, v79
	v_add_f32_e32 v65, v65, v67
	v_mul_f32_e32 v67, 0xbf59a7d5, v121
	v_fmac_f32_e32 v154, 0x3ee437d1, v122
	v_mov_b32_e32 v122, v67
	v_fma_f32 v64, v79, s14, -v64
	v_fmac_f32_e32 v67, 0xbf06c442, v62
	v_add_f32_e32 v64, v64, v66
	v_add_f32_e32 v66, v67, v124
	v_mul_f32_e32 v67, 0x3f65296c, v63
	v_mov_b32_e32 v123, v67
	v_fma_f32 v67, v79, s3, -v67
	v_fmac_f32_e32 v122, 0x3f06c442, v62
	v_fmac_f32_e32 v123, 0x3ee437d1, v79
	v_mul_f32_e32 v124, 0x3ee437d1, v121
	v_add_f32_e32 v67, v67, v126
	v_mul_f32_e32 v126, 0xbf7ee86f, v63
	v_add_f32_e32 v122, v122, v125
	v_add_f32_e32 v123, v123, v127
	v_mov_b32_e32 v125, v124
	v_fmac_f32_e32 v124, 0x3f65296c, v62
	v_mov_b32_e32 v127, v126
	v_fma_f32 v126, v79, s2, -v126
	v_fmac_f32_e32 v125, 0xbf65296c, v62
	v_add_f32_e32 v124, v124, v128
	v_fmac_f32_e32 v127, 0x3dbcf732, v79
	v_mul_f32_e32 v128, 0x3dbcf732, v121
	v_add_f32_e32 v126, v126, v129
	v_mul_f32_e32 v129, 0x3f4c4adb, v63
	v_add_f32_e32 v125, v125, v130
	v_add_f32_e32 v127, v127, v131
	v_mov_b32_e32 v130, v128
	v_fmac_f32_e32 v128, 0xbf7ee86f, v62
	v_mov_b32_e32 v131, v129
	v_fma_f32 v129, v79, s13, -v129
	v_fmac_f32_e32 v130, 0x3f7ee86f, v62
	v_add_f32_e32 v128, v128, v132
	;; [unrolled: 12-line block ×3, first 2 shown]
	v_fmac_f32_e32 v139, 0x3f6eb680, v79
	v_mul_f32_e32 v140, 0x3f6eb680, v121
	v_add_f32_e32 v135, v135, v141
	v_mul_f32_e32 v141, 0xbe3c28d5, v63
	v_add_f32_e32 v170, v170, v174
	v_add_f32_e32 v138, v138, v142
	;; [unrolled: 1-line block ×3, first 2 shown]
	v_mov_b32_e32 v142, v140
	v_fmac_f32_e32 v140, 0xbeb8f4ab, v62
	v_mov_b32_e32 v143, v141
	v_fma_f32 v141, v79, s15, -v141
	v_add_f32_e32 v168, v168, v172
	v_add_f32_e32 v171, v171, v175
	;; [unrolled: 1-line block ×3, first 2 shown]
	v_fmac_f32_e32 v142, 0x3eb8f4ab, v62
	v_add_f32_e32 v140, v140, v144
	v_fmac_f32_e32 v143, 0xbf7ba420, v79
	v_mul_f32_e32 v144, 0xbf7ba420, v121
	v_add_f32_e32 v141, v141, v146
	v_mul_f32_e32 v146, 0x3f2c7751, v63
	v_add_f32_e32 v169, v169, v173
	v_add_f32_e32 v164, v164, v168
	;; [unrolled: 1-line block ×6, first 2 shown]
	v_mov_b32_e32 v145, v144
	v_fmac_f32_e32 v144, 0xbe3c28d5, v62
	v_mov_b32_e32 v147, v146
	v_fma_f32 v146, v79, s6, -v146
	v_mul_f32_e32 v63, 0xbf763a35, v63
	v_add_f32_e32 v165, v165, v169
	v_add_f32_e32 v160, v160, v164
	;; [unrolled: 1-line block ×5, first 2 shown]
	v_fmac_f32_e32 v147, 0x3f3d2fb0, v79
	v_mul_f32_e32 v148, 0x3f3d2fb0, v121
	v_add_f32_e32 v146, v146, v150
	v_mov_b32_e32 v150, v63
	v_mul_f32_e32 v121, 0xbe8c1d8e, v121
	v_add_f32_e32 v161, v161, v165
	v_add_f32_e32 v156, v156, v160
	;; [unrolled: 1-line block ×4, first 2 shown]
	v_fmac_f32_e32 v145, 0x3e3c28d5, v62
	v_add_f32_e32 v147, v147, v151
	v_fmac_f32_e32 v150, 0xbe8c1d8e, v79
	v_mov_b32_e32 v151, v121
	v_add_f32_e32 v157, v157, v161
	v_add_f32_e32 v152, v152, v156
	v_add_f32_e32 v155, v155, v159
	v_add_f32_e32 v145, v145, v149
	v_mov_b32_e32 v149, v148
	v_add_f32_e32 v150, v150, v154
	v_fmac_f32_e32 v151, 0x3f763a35, v62
	v_add_f32_e32 v154, v59, v57
	v_sub_f32_e32 v156, v57, v59
	v_add_f32_e32 v153, v153, v157
	v_fmac_f32_e32 v149, 0xbf2c7751, v62
	v_fmac_f32_e32 v148, 0x3f2c7751, v62
	v_add_f32_e32 v151, v151, v155
	v_fmac_f32_e32 v121, 0xbf763a35, v62
	v_sub_f32_e32 v155, v56, v58
	v_mul_f32_e32 v59, 0xbf7ba420, v154
	v_mul_f32_e32 v62, 0x3eb8f4ab, v156
	v_add_f32_e32 v149, v149, v153
	v_add_f32_e32 v148, v148, v152
	v_fma_f32 v63, v79, s7, -v63
	v_add_f32_e32 v152, v121, v60
	v_add_f32_e32 v153, v58, v56
	v_mul_f32_e32 v58, 0xbe3c28d5, v156
	v_mov_b32_e32 v57, v59
	v_fmac_f32_e32 v59, 0xbe3c28d5, v155
	v_mov_b32_e32 v60, v62
	v_add_f32_e32 v79, v63, v61
	v_mov_b32_e32 v56, v58
	v_fma_f32 v58, v153, s15, -v58
	v_add_f32_e32 v59, v59, v66
	v_fmac_f32_e32 v60, 0x3f6eb680, v153
	v_mul_f32_e32 v63, 0x3f6eb680, v154
	v_mul_f32_e32 v66, 0xbf06c442, v156
	v_add_f32_e32 v58, v58, v64
	v_add_f32_e32 v60, v60, v123
	v_mov_b32_e32 v61, v63
	v_fma_f32 v62, v153, s12, -v62
	v_fmac_f32_e32 v63, 0x3eb8f4ab, v155
	v_mov_b32_e32 v64, v66
	v_mul_f32_e32 v123, 0x3f2c7751, v156
	v_fmac_f32_e32 v56, 0xbf7ba420, v153
	v_fmac_f32_e32 v57, 0x3e3c28d5, v155
	v_add_f32_e32 v62, v62, v67
	v_add_f32_e32 v63, v63, v124
	v_fmac_f32_e32 v64, 0xbf59a7d5, v153
	v_mul_f32_e32 v67, 0xbf59a7d5, v154
	v_mov_b32_e32 v121, v123
	v_mul_f32_e32 v124, 0x3f3d2fb0, v154
	v_add_f32_e32 v56, v56, v65
	v_add_f32_e32 v57, v57, v122
	v_fmac_f32_e32 v61, 0xbeb8f4ab, v155
	v_add_f32_e32 v64, v64, v127
	v_mov_b32_e32 v65, v67
	v_fmac_f32_e32 v121, 0x3f3d2fb0, v153
	v_mov_b32_e32 v122, v124
	v_fmac_f32_e32 v124, 0x3f2c7751, v155
	v_mul_f32_e32 v127, 0xbf4c4adb, v156
	v_add_f32_e32 v61, v61, v125
	v_fmac_f32_e32 v65, 0x3f06c442, v155
	v_fmac_f32_e32 v67, 0xbf06c442, v155
	v_add_f32_e32 v121, v121, v131
	v_fma_f32 v123, v153, s6, -v123
	v_add_f32_e32 v124, v124, v132
	v_mov_b32_e32 v125, v127
	v_fma_f32 v127, v153, s13, -v127
	v_mul_f32_e32 v131, 0x3f65296c, v156
	v_mul_f32_e32 v132, 0x3ee437d1, v154
	v_add_f32_e32 v65, v65, v130
	v_fma_f32 v66, v153, s14, -v66
	v_add_f32_e32 v67, v67, v128
	v_fmac_f32_e32 v122, 0xbf2c7751, v155
	v_add_f32_e32 v123, v123, v129
	v_mul_f32_e32 v128, 0xbf1a4643, v154
	v_add_f32_e32 v127, v127, v135
	v_mov_b32_e32 v129, v131
	v_mov_b32_e32 v130, v132
	v_fma_f32 v131, v153, s3, -v131
	v_mul_f32_e32 v135, 0xbf763a35, v156
	v_add_f32_e32 v66, v66, v126
	v_add_f32_e32 v122, v122, v138
	v_fmac_f32_e32 v125, 0xbf1a4643, v153
	v_mov_b32_e32 v126, v128
	v_fmac_f32_e32 v128, 0xbf4c4adb, v155
	v_fmac_f32_e32 v130, 0xbf65296c, v155
	v_add_f32_e32 v131, v131, v141
	v_mov_b32_e32 v138, v135
	v_mul_f32_e32 v141, 0xbe8c1d8e, v154
	v_fma_f32 v135, v153, s7, -v135
	v_add_f32_e32 v125, v125, v139
	v_fmac_f32_e32 v126, 0x3f4c4adb, v155
	v_add_f32_e32 v128, v128, v140
	v_fmac_f32_e32 v129, 0x3ee437d1, v153
	v_add_f32_e32 v130, v130, v145
	v_mov_b32_e32 v139, v141
	v_add_f32_e32 v140, v135, v146
	v_mul_f32_e32 v135, 0x3f7ee86f, v156
	v_mul_f32_e32 v145, 0x3dbcf732, v154
	v_add_f32_e32 v126, v126, v142
	v_add_f32_e32 v129, v129, v143
	v_fmac_f32_e32 v132, 0x3f65296c, v155
	v_fmac_f32_e32 v138, 0xbe8c1d8e, v153
	;; [unrolled: 1-line block ×4, first 2 shown]
	v_mov_b32_e32 v142, v135
	v_mov_b32_e32 v143, v145
	v_add_f32_e32 v132, v132, v144
	v_add_f32_e32 v138, v138, v147
	v_add_f32_e32 v139, v139, v149
	v_add_f32_e32 v141, v141, v148
	v_fmac_f32_e32 v142, 0x3dbcf732, v153
	v_fmac_f32_e32 v143, 0xbf7ee86f, v155
	v_fma_f32 v135, v153, s2, -v135
	v_fmac_f32_e32 v145, 0x3f7ee86f, v155
	v_add_f32_e32 v142, v142, v150
	v_add_f32_e32 v143, v143, v151
	;; [unrolled: 1-line block ×4, first 2 shown]
	s_barrier
	ds_write2_b64 v136, v[70:71], v[56:57] offset1:1
	ds_write2_b64 v136, v[60:61], v[64:65] offset0:2 offset1:3
	ds_write2_b64 v136, v[121:122], v[125:126] offset0:4 offset1:5
	;; [unrolled: 1-line block ×7, first 2 shown]
	ds_write_b64 v136, v[58:59] offset:128
	s_waitcnt lgkmcnt(0)
	s_barrier
	ds_read2_b64 v[56:59], v133 offset1:102
	ds_read2_b64 v[60:63], v75 offset0:76 offset1:178
	ds_read2_b64 v[64:67], v73 offset0:152 offset1:254
	;; [unrolled: 1-line block ×7, first 2 shown]
	ds_read_b64 v[70:71], v133 offset:13056
	s_waitcnt lgkmcnt(8)
	v_mul_f32_e32 v79, v25, v59
	v_mul_f32_e32 v25, v25, v58
	v_fmac_f32_e32 v79, v24, v58
	v_fma_f32 v58, v24, v59, -v25
	s_waitcnt lgkmcnt(7)
	v_mul_f32_e32 v59, v27, v61
	v_fmac_f32_e32 v59, v26, v60
	v_mul_f32_e32 v24, v27, v60
	v_mul_f32_e32 v60, v17, v63
	;; [unrolled: 1-line block ×3, first 2 shown]
	v_fma_f32 v27, v26, v61, -v24
	v_fmac_f32_e32 v60, v16, v62
	v_fma_f32 v61, v16, v63, -v17
	s_waitcnt lgkmcnt(6)
	v_mul_f32_e32 v62, v19, v65
	v_mul_f32_e32 v16, v19, v64
	;; [unrolled: 1-line block ×4, first 2 shown]
	v_fmac_f32_e32 v62, v18, v64
	v_fma_f32 v63, v18, v65, -v16
	v_fmac_f32_e32 v25, v8, v66
	v_fma_f32 v26, v8, v67, -v9
	s_waitcnt lgkmcnt(5)
	v_mul_f32_e32 v18, v11, v122
	v_mul_f32_e32 v8, v11, v121
	v_fmac_f32_e32 v18, v10, v121
	v_fma_f32 v19, v10, v122, -v8
	v_mul_f32_e32 v10, v1, v124
	v_mul_f32_e32 v1, v1, v123
	v_fmac_f32_e32 v10, v0, v123
	v_fma_f32 v11, v0, v124, -v1
	s_waitcnt lgkmcnt(4)
	v_mul_f32_e32 v8, v3, v126
	v_mul_f32_e32 v0, v3, v125
	v_fmac_f32_e32 v8, v2, v125
	v_fma_f32 v2, v2, v126, -v0
	v_mul_f32_e32 v0, v29, v127
	v_fma_f32 v9, v28, v128, -v0
	s_waitcnt lgkmcnt(3)
	v_mul_f32_e32 v0, v31, v129
	v_fma_f32 v17, v30, v130, -v0
	v_mul_f32_e32 v24, v21, v132
	v_mul_f32_e32 v0, v21, v131
	v_fmac_f32_e32 v24, v20, v131
	v_fma_f32 v20, v20, v132, -v0
	s_waitcnt lgkmcnt(2)
	v_mul_f32_e32 v21, v23, v139
	v_mul_f32_e32 v0, v23, v138
	v_fmac_f32_e32 v21, v22, v138
	v_fma_f32 v22, v22, v139, -v0
	v_mul_f32_e32 v23, v13, v141
	v_mul_f32_e32 v0, v13, v140
	v_fmac_f32_e32 v23, v12, v140
	v_fma_f32 v12, v12, v141, -v0
	s_waitcnt lgkmcnt(1)
	v_mul_f32_e32 v13, v15, v76
	v_mul_f32_e32 v0, v15, v75
	v_fmac_f32_e32 v13, v14, v75
	;; [unrolled: 9-line block ×3, first 2 shown]
	v_fma_f32 v6, v6, v71, -v0
	v_add_f32_e32 v0, v56, v79
	v_add_f32_e32 v1, v57, v58
	;; [unrolled: 1-line block ×12, first 2 shown]
	v_mul_f32_e32 v3, v29, v128
	v_add_f32_e32 v0, v0, v10
	v_add_f32_e32 v1, v1, v11
	v_fmac_f32_e32 v3, v28, v127
	v_mul_f32_e32 v16, v31, v130
	v_add_f32_e32 v0, v0, v8
	v_add_f32_e32 v1, v1, v2
	v_fmac_f32_e32 v16, v30, v129
	v_add_f32_e32 v0, v0, v3
	v_add_f32_e32 v1, v1, v9
	;; [unrolled: 1-line block ×18, first 2 shown]
	v_sub_f32_e32 v5, v79, v5
	v_sub_f32_e32 v6, v58, v6
	v_mul_f32_e32 v31, 0x3f6eb680, v28
	v_mul_f32_e32 v66, 0x3f3d2fb0, v28
	;; [unrolled: 1-line block ×9, first 2 shown]
	v_mov_b32_e32 v58, v31
	v_mul_f32_e32 v64, 0xbf2c7751, v6
	v_mov_b32_e32 v67, v66
	v_mul_f32_e32 v70, 0xbf65296c, v6
	;; [unrolled: 2-line block ×7, first 2 shown]
	v_mov_b32_e32 v138, v28
	v_fmac_f32_e32 v28, 0xbe3c28d5, v5
	v_mov_b32_e32 v30, v29
	v_fmac_f32_e32 v58, 0x3eb8f4ab, v5
	v_fmac_f32_e32 v31, 0xbeb8f4ab, v5
	v_mov_b32_e32 v65, v64
	v_fmac_f32_e32 v67, 0x3f2c7751, v5
	;; [unrolled: 3-line block ×8, first 2 shown]
	v_add_f32_e32 v5, v57, v28
	v_add_f32_e32 v28, v27, v4
	v_sub_f32_e32 v4, v27, v4
	v_fmac_f32_e32 v30, 0x3f6eb680, v7
	v_fma_f32 v29, v7, s12, -v29
	v_fmac_f32_e32 v65, 0x3f3d2fb0, v7
	v_fma_f32 v64, v7, s6, -v64
	;; [unrolled: 2-line block ×8, first 2 shown]
	v_mul_f32_e32 v27, 0xbf2c7751, v4
	v_add_f32_e32 v30, v56, v30
	v_add_f32_e32 v29, v56, v29
	;; [unrolled: 1-line block ×17, first 2 shown]
	v_mov_b32_e32 v56, v27
	v_fmac_f32_e32 v56, 0x3f3d2fb0, v7
	v_sub_f32_e32 v15, v59, v15
	v_add_f32_e32 v30, v56, v30
	v_mul_f32_e32 v56, 0x3f3d2fb0, v28
	v_add_f32_e32 v58, v57, v58
	v_add_f32_e32 v31, v57, v31
	;; [unrolled: 1-line block ×15, first 2 shown]
	v_mov_b32_e32 v57, v56
	v_fma_f32 v27, v7, s6, -v27
	v_fmac_f32_e32 v56, 0xbf2c7751, v15
	v_add_f32_e32 v27, v27, v29
	v_add_f32_e32 v29, v56, v31
	v_mul_f32_e32 v31, 0xbf7ee86f, v4
	v_fmac_f32_e32 v57, 0x3f2c7751, v15
	v_mov_b32_e32 v56, v31
	v_fma_f32 v31, v7, s2, -v31
	v_add_f32_e32 v57, v57, v58
	v_fmac_f32_e32 v56, 0x3dbcf732, v7
	v_mul_f32_e32 v58, 0x3dbcf732, v28
	v_add_f32_e32 v31, v31, v64
	v_mul_f32_e32 v64, 0xbf4c4adb, v4
	v_add_f32_e32 v56, v56, v65
	v_mov_b32_e32 v59, v58
	v_fmac_f32_e32 v58, 0xbf7ee86f, v15
	v_mov_b32_e32 v65, v64
	v_fma_f32 v64, v7, s13, -v64
	v_fmac_f32_e32 v59, 0x3f7ee86f, v15
	v_add_f32_e32 v58, v58, v66
	v_fmac_f32_e32 v65, 0xbf1a4643, v7
	v_mul_f32_e32 v66, 0xbf1a4643, v28
	v_add_f32_e32 v64, v64, v70
	v_mul_f32_e32 v70, 0xbe3c28d5, v4
	v_add_f32_e32 v59, v59, v67
	v_add_f32_e32 v65, v65, v71
	v_mov_b32_e32 v67, v66
	v_fmac_f32_e32 v66, 0xbf4c4adb, v15
	v_mov_b32_e32 v71, v70
	v_fma_f32 v70, v7, s15, -v70
	v_fmac_f32_e32 v67, 0x3f4c4adb, v15
	v_add_f32_e32 v66, v66, v75
	v_fmac_f32_e32 v71, 0xbf7ba420, v7
	v_mul_f32_e32 v75, 0xbf7ba420, v28
	v_add_f32_e32 v70, v70, v77
	v_mul_f32_e32 v77, 0x3f06c442, v4
	v_add_f32_e32 v67, v67, v76
	;; [unrolled: 12-line block ×4, first 2 shown]
	v_add_f32_e32 v123, v123, v127
	v_mov_b32_e32 v125, v124
	v_fmac_f32_e32 v124, 0x3f763a35, v15
	v_mov_b32_e32 v127, v126
	v_fma_f32 v126, v7, s3, -v126
	v_mul_f32_e32 v4, 0x3eb8f4ab, v4
	v_fmac_f32_e32 v125, 0xbf763a35, v15
	v_add_f32_e32 v124, v124, v128
	v_fmac_f32_e32 v127, 0x3ee437d1, v7
	v_mul_f32_e32 v128, 0x3ee437d1, v28
	v_add_f32_e32 v126, v126, v130
	v_mov_b32_e32 v130, v4
	v_mul_f32_e32 v28, 0x3f6eb680, v28
	v_add_f32_e32 v125, v125, v129
	v_add_f32_e32 v127, v127, v131
	v_mov_b32_e32 v129, v128
	v_fmac_f32_e32 v130, 0x3f6eb680, v7
	v_mov_b32_e32 v131, v28
	v_fma_f32 v4, v7, s12, -v4
	v_add_f32_e32 v7, v61, v14
	v_sub_f32_e32 v14, v61, v14
	v_fmac_f32_e32 v129, 0xbf65296c, v15
	v_fmac_f32_e32 v128, 0x3f65296c, v15
	;; [unrolled: 1-line block ×4, first 2 shown]
	v_mul_f32_e32 v15, 0xbf65296c, v14
	v_add_f32_e32 v4, v4, v6
	v_add_f32_e32 v5, v28, v5
	;; [unrolled: 1-line block ×3, first 2 shown]
	v_mov_b32_e32 v28, v15
	v_fmac_f32_e32 v28, 0x3ee437d1, v6
	v_sub_f32_e32 v13, v60, v13
	v_add_f32_e32 v28, v28, v30
	v_mul_f32_e32 v30, 0x3ee437d1, v7
	v_mov_b32_e32 v60, v30
	v_fma_f32 v15, v6, s3, -v15
	v_fmac_f32_e32 v30, 0xbf65296c, v13
	v_add_f32_e32 v15, v15, v27
	v_add_f32_e32 v27, v30, v29
	v_mul_f32_e32 v29, 0xbf4c4adb, v14
	v_mov_b32_e32 v30, v29
	v_fmac_f32_e32 v30, 0xbf1a4643, v6
	v_fmac_f32_e32 v60, 0x3f65296c, v13
	v_add_f32_e32 v30, v30, v56
	v_mul_f32_e32 v56, 0xbf1a4643, v7
	v_add_f32_e32 v57, v60, v57
	v_mov_b32_e32 v60, v56
	v_fma_f32 v29, v6, s13, -v29
	v_fmac_f32_e32 v56, 0xbf4c4adb, v13
	v_add_f32_e32 v29, v29, v31
	v_add_f32_e32 v31, v56, v58
	v_mul_f32_e32 v56, 0x3e3c28d5, v14
	v_fmac_f32_e32 v60, 0x3f4c4adb, v13
	v_mov_b32_e32 v58, v56
	v_fma_f32 v56, v6, s15, -v56
	v_add_f32_e32 v59, v60, v59
	v_fmac_f32_e32 v58, 0xbf7ba420, v6
	v_mul_f32_e32 v60, 0xbf7ba420, v7
	v_add_f32_e32 v56, v56, v64
	v_mul_f32_e32 v64, 0x3f763a35, v14
	v_add_f32_e32 v58, v58, v65
	v_mov_b32_e32 v61, v60
	v_fmac_f32_e32 v60, 0x3e3c28d5, v13
	v_mov_b32_e32 v65, v64
	v_fma_f32 v64, v6, s7, -v64
	v_fmac_f32_e32 v61, 0xbe3c28d5, v13
	v_add_f32_e32 v60, v60, v66
	v_fmac_f32_e32 v65, 0xbe8c1d8e, v6
	v_mul_f32_e32 v66, 0xbe8c1d8e, v7
	v_add_f32_e32 v64, v64, v70
	v_mul_f32_e32 v70, 0x3f2c7751, v14
	v_add_f32_e32 v61, v61, v67
	v_add_f32_e32 v65, v65, v71
	v_mov_b32_e32 v67, v66
	v_fmac_f32_e32 v66, 0x3f763a35, v13
	v_mov_b32_e32 v71, v70
	v_fma_f32 v70, v6, s6, -v70
	v_fmac_f32_e32 v67, 0xbf763a35, v13
	v_add_f32_e32 v66, v66, v75
	v_fmac_f32_e32 v71, 0x3f3d2fb0, v6
	v_mul_f32_e32 v75, 0x3f3d2fb0, v7
	v_add_f32_e32 v70, v70, v77
	v_mul_f32_e32 v77, 0xbeb8f4ab, v14
	v_add_f32_e32 v67, v67, v76
	v_add_f32_e32 v71, v71, v78
	v_mov_b32_e32 v76, v75
	v_fmac_f32_e32 v75, 0x3f2c7751, v13
	v_mov_b32_e32 v78, v77
	v_fma_f32 v77, v6, s12, -v77
	v_fmac_f32_e32 v76, 0xbf2c7751, v13
	v_add_f32_e32 v75, v75, v79
	v_fmac_f32_e32 v78, 0x3f6eb680, v6
	v_mul_f32_e32 v79, 0x3f6eb680, v7
	v_add_f32_e32 v77, v77, v122
	v_mul_f32_e32 v122, 0xbf7ee86f, v14
	v_add_f32_e32 v76, v76, v121
	v_add_f32_e32 v78, v78, v123
	v_mov_b32_e32 v121, v79
	v_fmac_f32_e32 v79, 0xbeb8f4ab, v13
	v_mov_b32_e32 v123, v122
	v_add_f32_e32 v79, v79, v124
	v_fmac_f32_e32 v123, 0x3dbcf732, v6
	v_mul_f32_e32 v124, 0x3dbcf732, v7
	v_mul_f32_e32 v7, 0xbf59a7d5, v7
	v_add_f32_e32 v123, v123, v127
	v_fma_f32 v122, v6, s2, -v122
	v_mul_f32_e32 v14, 0xbf06c442, v14
	v_mov_b32_e32 v127, v7
	v_fmac_f32_e32 v7, 0xbf06c442, v13
	v_fmac_f32_e32 v121, 0x3eb8f4ab, v13
	v_add_f32_e32 v122, v122, v126
	v_mov_b32_e32 v126, v14
	v_add_f32_e32 v5, v7, v5
	v_add_f32_e32 v7, v63, v12
	v_sub_f32_e32 v12, v63, v12
	v_add_f32_e32 v121, v121, v125
	v_mov_b32_e32 v125, v124
	v_fmac_f32_e32 v126, 0xbf59a7d5, v6
	v_fma_f32 v6, v6, s14, -v14
	v_mul_f32_e32 v14, 0xbf7ee86f, v12
	v_fmac_f32_e32 v125, 0x3f7ee86f, v13
	v_fmac_f32_e32 v124, 0xbf7ee86f, v13
	;; [unrolled: 1-line block ×3, first 2 shown]
	v_add_f32_e32 v4, v6, v4
	v_add_f32_e32 v6, v62, v23
	v_sub_f32_e32 v13, v62, v23
	v_mov_b32_e32 v23, v14
	v_fmac_f32_e32 v23, 0x3dbcf732, v6
	v_add_f32_e32 v23, v23, v28
	v_mul_f32_e32 v28, 0x3dbcf732, v7
	v_mov_b32_e32 v62, v28
	v_fma_f32 v14, v6, s2, -v14
	v_fmac_f32_e32 v28, 0xbf7ee86f, v13
	v_add_f32_e32 v14, v14, v15
	v_add_f32_e32 v15, v28, v27
	v_mul_f32_e32 v27, 0xbe3c28d5, v12
	v_mov_b32_e32 v28, v27
	v_fmac_f32_e32 v28, 0xbf7ba420, v6
	v_fmac_f32_e32 v62, 0x3f7ee86f, v13
	v_add_f32_e32 v28, v28, v30
	v_mul_f32_e32 v30, 0xbf7ba420, v7
	v_add_f32_e32 v57, v62, v57
	v_mov_b32_e32 v62, v30
	v_fma_f32 v27, v6, s15, -v27
	v_fmac_f32_e32 v30, 0xbe3c28d5, v13
	v_add_f32_e32 v27, v27, v29
	v_add_f32_e32 v29, v30, v31
	v_mul_f32_e32 v30, 0x3f763a35, v12
	v_mov_b32_e32 v31, v30
	v_fmac_f32_e32 v31, 0xbe8c1d8e, v6
	v_fmac_f32_e32 v62, 0x3e3c28d5, v13
	v_add_f32_e32 v31, v31, v58
	v_mul_f32_e32 v58, 0xbe8c1d8e, v7
	v_add_f32_e32 v59, v62, v59
	v_mov_b32_e32 v62, v58
	v_fma_f32 v30, v6, s7, -v30
	v_fmac_f32_e32 v58, 0x3f763a35, v13
	v_add_f32_e32 v30, v30, v56
	v_add_f32_e32 v56, v58, v60
	v_mul_f32_e32 v58, 0x3eb8f4ab, v12
	v_fmac_f32_e32 v62, 0xbf763a35, v13
	v_mov_b32_e32 v60, v58
	v_fma_f32 v58, v6, s12, -v58
	v_add_f32_e32 v61, v62, v61
	v_fmac_f32_e32 v60, 0x3f6eb680, v6
	v_mul_f32_e32 v62, 0x3f6eb680, v7
	v_add_f32_e32 v58, v58, v64
	v_mul_f32_e32 v64, 0xbf65296c, v12
	v_add_f32_e32 v60, v60, v65
	v_mov_b32_e32 v63, v62
	v_fmac_f32_e32 v62, 0x3eb8f4ab, v13
	v_mov_b32_e32 v65, v64
	v_fma_f32 v64, v6, s3, -v64
	v_fmac_f32_e32 v63, 0xbeb8f4ab, v13
	v_add_f32_e32 v62, v62, v66
	v_fmac_f32_e32 v65, 0x3ee437d1, v6
	v_mul_f32_e32 v66, 0x3ee437d1, v7
	v_add_f32_e32 v64, v64, v70
	v_mul_f32_e32 v70, 0xbf06c442, v12
	v_add_f32_e32 v63, v63, v67
	v_add_f32_e32 v65, v65, v71
	v_mov_b32_e32 v67, v66
	v_fmac_f32_e32 v66, 0xbf65296c, v13
	v_mov_b32_e32 v71, v70
	v_fma_f32 v70, v6, s14, -v70
	v_fmac_f32_e32 v67, 0x3f65296c, v13
	v_add_f32_e32 v66, v66, v75
	v_fmac_f32_e32 v71, 0xbf59a7d5, v6
	v_mul_f32_e32 v75, 0xbf59a7d5, v7
	v_add_f32_e32 v70, v70, v77
	v_mul_f32_e32 v77, 0x3f4c4adb, v12
	v_add_f32_e32 v67, v67, v76
	v_add_f32_e32 v71, v71, v78
	v_mov_b32_e32 v76, v75
	v_fmac_f32_e32 v75, 0xbf06c442, v13
	v_mov_b32_e32 v78, v77
	v_fmac_f32_e32 v76, 0x3f06c442, v13
	v_add_f32_e32 v75, v75, v79
	v_fmac_f32_e32 v78, 0xbf1a4643, v6
	v_mul_f32_e32 v79, 0xbf1a4643, v7
	v_fma_f32 v77, v6, s13, -v77
	v_mul_f32_e32 v12, 0x3f2c7751, v12
	v_mul_f32_e32 v7, 0x3f3d2fb0, v7
	v_add_f32_e32 v76, v76, v121
	v_add_f32_e32 v78, v78, v123
	v_mov_b32_e32 v121, v79
	v_add_f32_e32 v77, v77, v122
	v_mov_b32_e32 v122, v12
	v_mov_b32_e32 v123, v7
	v_fmac_f32_e32 v121, 0xbf4c4adb, v13
	v_fmac_f32_e32 v79, 0x3f4c4adb, v13
	;; [unrolled: 1-line block ×4, first 2 shown]
	v_fma_f32 v6, v6, s6, -v12
	v_fmac_f32_e32 v7, 0x3f2c7751, v13
	v_sub_f32_e32 v13, v26, v22
	v_add_f32_e32 v4, v6, v4
	v_add_f32_e32 v6, v25, v21
	v_sub_f32_e32 v12, v25, v21
	v_mul_f32_e32 v21, 0xbf763a35, v13
	v_add_f32_e32 v5, v7, v5
	v_add_f32_e32 v7, v26, v22
	v_mov_b32_e32 v22, v21
	v_fmac_f32_e32 v22, 0xbe8c1d8e, v6
	v_add_f32_e32 v22, v22, v23
	v_mul_f32_e32 v23, 0xbe8c1d8e, v7
	v_fma_f32 v21, v6, s7, -v21
	v_mov_b32_e32 v25, v23
	v_add_f32_e32 v14, v21, v14
	v_fmac_f32_e32 v23, 0xbf763a35, v12
	v_mul_f32_e32 v21, 0x3f06c442, v13
	v_add_f32_e32 v15, v23, v15
	v_mov_b32_e32 v23, v21
	v_fmac_f32_e32 v23, 0xbf59a7d5, v6
	v_mul_f32_e32 v26, 0xbf59a7d5, v7
	v_fma_f32 v21, v6, s14, -v21
	v_add_f32_e32 v23, v23, v28
	v_mov_b32_e32 v28, v26
	v_add_f32_e32 v21, v21, v27
	v_fmac_f32_e32 v26, 0x3f06c442, v12
	v_mul_f32_e32 v27, 0x3f2c7751, v13
	v_add_f32_e32 v26, v26, v29
	v_mov_b32_e32 v29, v27
	v_fmac_f32_e32 v29, 0x3f3d2fb0, v6
	v_fmac_f32_e32 v25, 0x3f763a35, v12
	v_add_f32_e32 v29, v29, v31
	v_mul_f32_e32 v31, 0x3f3d2fb0, v7
	v_add_f32_e32 v25, v25, v57
	v_mov_b32_e32 v57, v31
	v_fma_f32 v27, v6, s6, -v27
	v_fmac_f32_e32 v31, 0x3f2c7751, v12
	v_add_f32_e32 v27, v27, v30
	v_add_f32_e32 v30, v31, v56
	v_mul_f32_e32 v31, 0xbf65296c, v13
	v_fmac_f32_e32 v28, 0xbf06c442, v12
	v_mov_b32_e32 v56, v31
	v_add_f32_e32 v28, v28, v59
	v_fmac_f32_e32 v56, 0x3ee437d1, v6
	v_mul_f32_e32 v59, 0x3ee437d1, v7
	v_add_f32_e32 v56, v56, v60
	v_mov_b32_e32 v60, v59
	v_fma_f32 v31, v6, s3, -v31
	v_fmac_f32_e32 v59, 0xbf65296c, v12
	v_fmac_f32_e32 v57, 0xbf2c7751, v12
	v_add_f32_e32 v31, v31, v58
	v_add_f32_e32 v58, v59, v62
	v_mul_f32_e32 v59, 0xbe3c28d5, v13
	v_add_f32_e32 v57, v57, v61
	v_mov_b32_e32 v61, v59
	v_fma_f32 v59, v6, s15, -v59
	v_fmac_f32_e32 v60, 0x3f65296c, v12
	v_fmac_f32_e32 v61, 0xbf7ba420, v6
	v_mul_f32_e32 v62, 0xbf7ba420, v7
	v_add_f32_e32 v59, v59, v64
	v_mul_f32_e32 v64, 0x3f7ee86f, v13
	v_add_f32_e32 v60, v60, v63
	v_add_f32_e32 v61, v61, v65
	v_mov_b32_e32 v63, v62
	v_fmac_f32_e32 v62, 0xbe3c28d5, v12
	v_mov_b32_e32 v65, v64
	v_fma_f32 v64, v6, s2, -v64
	v_fmac_f32_e32 v63, 0x3e3c28d5, v12
	v_add_f32_e32 v62, v62, v66
	v_fmac_f32_e32 v65, 0x3dbcf732, v6
	v_mul_f32_e32 v66, 0x3dbcf732, v7
	v_add_f32_e32 v64, v64, v70
	v_mul_f32_e32 v70, 0xbeb8f4ab, v13
	v_add_f32_e32 v63, v63, v67
	v_add_f32_e32 v65, v65, v71
	v_mov_b32_e32 v67, v66
	v_fmac_f32_e32 v66, 0x3f7ee86f, v12
	v_mov_b32_e32 v71, v70
	v_fma_f32 v70, v6, s12, -v70
	v_mul_f32_e32 v13, 0xbf4c4adb, v13
	v_fmac_f32_e32 v67, 0xbf7ee86f, v12
	v_add_f32_e32 v66, v66, v75
	v_fmac_f32_e32 v71, 0x3f6eb680, v6
	v_mul_f32_e32 v75, 0x3f6eb680, v7
	v_add_f32_e32 v70, v70, v77
	v_mov_b32_e32 v77, v13
	v_mul_f32_e32 v7, 0xbf1a4643, v7
	v_add_f32_e32 v67, v67, v76
	v_add_f32_e32 v71, v71, v78
	v_mov_b32_e32 v76, v75
	v_fmac_f32_e32 v77, 0xbf1a4643, v6
	v_mov_b32_e32 v78, v7
	v_fma_f32 v6, v6, s13, -v13
	v_sub_f32_e32 v13, v19, v20
	v_fmac_f32_e32 v76, 0x3eb8f4ab, v12
	v_fmac_f32_e32 v75, 0xbeb8f4ab, v12
	;; [unrolled: 1-line block ×3, first 2 shown]
	v_add_f32_e32 v4, v6, v4
	v_fmac_f32_e32 v7, 0xbf4c4adb, v12
	v_add_f32_e32 v6, v18, v24
	v_sub_f32_e32 v12, v18, v24
	v_mul_f32_e32 v18, 0xbf4c4adb, v13
	v_add_f32_e32 v5, v7, v5
	v_add_f32_e32 v7, v19, v20
	v_mov_b32_e32 v19, v18
	v_fmac_f32_e32 v19, 0xbf1a4643, v6
	v_mul_f32_e32 v20, 0xbf1a4643, v7
	v_fma_f32 v18, v6, s13, -v18
	v_add_f32_e32 v19, v19, v22
	v_mov_b32_e32 v22, v20
	v_add_f32_e32 v14, v18, v14
	v_fmac_f32_e32 v20, 0xbf4c4adb, v12
	v_mul_f32_e32 v18, 0x3f763a35, v13
	v_add_f32_e32 v15, v20, v15
	v_mov_b32_e32 v20, v18
	v_fmac_f32_e32 v20, 0xbe8c1d8e, v6
	v_add_f32_e32 v20, v20, v23
	v_mul_f32_e32 v23, 0xbe8c1d8e, v7
	v_mov_b32_e32 v24, v23
	v_fma_f32 v18, v6, s7, -v18
	v_fmac_f32_e32 v23, 0x3f763a35, v12
	v_fmac_f32_e32 v22, 0x3f4c4adb, v12
	v_add_f32_e32 v18, v18, v21
	v_add_f32_e32 v21, v23, v26
	v_mul_f32_e32 v23, 0xbeb8f4ab, v13
	v_add_f32_e32 v22, v22, v25
	v_mov_b32_e32 v25, v23
	v_fma_f32 v23, v6, s12, -v23
	v_fmac_f32_e32 v24, 0xbf763a35, v12
	v_fmac_f32_e32 v25, 0x3f6eb680, v6
	v_mul_f32_e32 v26, 0x3f6eb680, v7
	v_add_f32_e32 v23, v23, v27
	v_mul_f32_e32 v27, 0xbf06c442, v13
	v_add_f32_e32 v24, v24, v28
	v_add_f32_e32 v25, v25, v29
	v_mov_b32_e32 v28, v26
	v_fmac_f32_e32 v26, 0xbeb8f4ab, v12
	v_mov_b32_e32 v29, v27
	v_fma_f32 v27, v6, s14, -v27
	v_fmac_f32_e32 v28, 0x3eb8f4ab, v12
	v_add_f32_e32 v26, v26, v30
	v_fmac_f32_e32 v29, 0xbf59a7d5, v6
	v_mul_f32_e32 v30, 0xbf59a7d5, v7
	v_add_f32_e32 v27, v27, v31
	v_mul_f32_e32 v31, 0x3f7ee86f, v13
	v_add_f32_e32 v28, v28, v57
	v_add_f32_e32 v29, v29, v56
	v_mov_b32_e32 v56, v30
	v_fmac_f32_e32 v30, 0xbf06c442, v12
	v_mov_b32_e32 v57, v31
	v_fma_f32 v31, v6, s2, -v31
	v_fmac_f32_e32 v56, 0x3f06c442, v12
	v_add_f32_e32 v30, v30, v58
	;; [unrolled: 12-line block ×3, first 2 shown]
	v_fmac_f32_e32 v61, 0x3f3d2fb0, v6
	v_mul_f32_e32 v62, 0x3f3d2fb0, v7
	v_add_f32_e32 v59, v59, v64
	v_mul_f32_e32 v64, 0xbe3c28d5, v13
	v_add_f32_e32 v60, v60, v63
	v_add_f32_e32 v61, v61, v65
	v_mov_b32_e32 v63, v62
	v_fmac_f32_e32 v62, 0xbf2c7751, v12
	v_mov_b32_e32 v65, v64
	v_add_f32_e32 v62, v62, v66
	v_fmac_f32_e32 v65, 0xbf7ba420, v6
	v_mul_f32_e32 v66, 0xbf7ba420, v7
	v_fma_f32 v64, v6, s15, -v64
	v_mul_f32_e32 v13, 0x3f65296c, v13
	v_mul_f32_e32 v7, 0x3ee437d1, v7
	v_fmac_f32_e32 v63, 0x3f2c7751, v12
	v_add_f32_e32 v65, v65, v71
	v_add_f32_e32 v64, v64, v70
	v_mov_b32_e32 v70, v13
	v_mov_b32_e32 v71, v7
	v_fmac_f32_e32 v7, 0x3f65296c, v12
	v_add_f32_e32 v63, v63, v67
	v_mov_b32_e32 v67, v66
	v_fmac_f32_e32 v70, 0x3ee437d1, v6
	v_fma_f32 v6, v6, s3, -v13
	v_add_f32_e32 v5, v7, v5
	v_add_f32_e32 v7, v11, v17
	v_sub_f32_e32 v11, v11, v17
	v_fmac_f32_e32 v67, 0x3e3c28d5, v12
	v_fmac_f32_e32 v66, 0xbe3c28d5, v12
	;; [unrolled: 1-line block ×3, first 2 shown]
	v_add_f32_e32 v4, v6, v4
	v_add_f32_e32 v6, v10, v16
	v_sub_f32_e32 v10, v10, v16
	v_mul_f32_e32 v12, 0xbf06c442, v11
	v_mul_f32_e32 v16, 0xbf59a7d5, v7
	v_mov_b32_e32 v13, v12
	v_mov_b32_e32 v17, v16
	v_fma_f32 v12, v6, s14, -v12
	v_fmac_f32_e32 v16, 0xbf06c442, v10
	v_add_f32_e32 v12, v12, v14
	v_add_f32_e32 v14, v16, v15
	v_mul_f32_e32 v15, 0x3f65296c, v11
	v_fmac_f32_e32 v13, 0xbf59a7d5, v6
	v_mov_b32_e32 v16, v15
	v_add_f32_e32 v13, v13, v19
	v_fmac_f32_e32 v16, 0x3ee437d1, v6
	v_mul_f32_e32 v19, 0x3ee437d1, v7
	v_fmac_f32_e32 v17, 0x3f06c442, v10
	v_add_f32_e32 v16, v16, v20
	v_mov_b32_e32 v20, v19
	v_add_f32_e32 v129, v129, v135
	v_add_f32_e32 v17, v17, v22
	v_fmac_f32_e32 v20, 0xbf65296c, v10
	v_fma_f32 v15, v6, s3, -v15
	v_fmac_f32_e32 v19, 0x3f65296c, v10
	v_mul_f32_e32 v22, 0x3dbcf732, v7
	v_add_f32_e32 v125, v125, v129
	v_add_f32_e32 v20, v20, v24
	v_add_f32_e32 v15, v15, v18
	v_add_f32_e32 v18, v19, v21
	v_mul_f32_e32 v19, 0xbf7ee86f, v11
	v_mov_b32_e32 v24, v22
	v_fmac_f32_e32 v22, 0xbf7ee86f, v10
	v_add_f32_e32 v121, v121, v125
	v_mov_b32_e32 v21, v19
	v_fmac_f32_e32 v24, 0x3f7ee86f, v10
	v_fma_f32 v19, v6, s2, -v19
	v_add_f32_e32 v22, v22, v26
	v_mul_f32_e32 v26, 0xbf1a4643, v7
	v_add_f32_e32 v130, v130, v136
	v_add_f32_e32 v76, v76, v121
	v_fmac_f32_e32 v21, 0x3dbcf732, v6
	v_add_f32_e32 v24, v24, v28
	v_add_f32_e32 v19, v19, v23
	v_mul_f32_e32 v23, 0x3f4c4adb, v11
	v_mov_b32_e32 v28, v26
	v_fmac_f32_e32 v26, 0x3f4c4adb, v10
	v_add_f32_e32 v128, v128, v132
	v_add_f32_e32 v131, v131, v138
	;; [unrolled: 1-line block ×5, first 2 shown]
	v_mov_b32_e32 v25, v23
	v_fma_f32 v23, v6, s13, -v23
	v_add_f32_e32 v76, v26, v30
	v_mul_f32_e32 v26, 0xbeb8f4ab, v11
	v_add_f32_e32 v124, v124, v128
	v_add_f32_e32 v127, v127, v131
	;; [unrolled: 1-line block ×4, first 2 shown]
	v_mov_b32_e32 v27, v26
	v_add_f32_e32 v79, v79, v124
	v_add_f32_e32 v123, v123, v127
	;; [unrolled: 1-line block ×3, first 2 shown]
	v_fmac_f32_e32 v27, 0x3f6eb680, v6
	v_add_f32_e32 v75, v75, v79
	v_add_f32_e32 v78, v78, v123
	;; [unrolled: 1-line block ×3, first 2 shown]
	v_fmac_f32_e32 v28, 0xbf4c4adb, v10
	v_add_f32_e32 v77, v27, v57
	v_mul_f32_e32 v27, 0x3f6eb680, v7
	v_fma_f32 v26, v6, s12, -v26
	v_add_f32_e32 v66, v66, v75
	v_add_f32_e32 v71, v71, v78
	;; [unrolled: 1-line block ×3, first 2 shown]
	v_mov_b32_e32 v28, v27
	v_add_f32_e32 v78, v26, v31
	v_fmac_f32_e32 v27, 0xbeb8f4ab, v10
	v_mul_f32_e32 v26, 0xbe3c28d5, v11
	v_add_f32_e32 v58, v27, v58
	v_mov_b32_e32 v27, v26
	v_fmac_f32_e32 v27, 0xbf7ba420, v6
	v_fmac_f32_e32 v28, 0x3eb8f4ab, v10
	v_add_f32_e32 v61, v27, v61
	v_mul_f32_e32 v27, 0xbf7ba420, v7
	v_fma_f32 v26, v6, s15, -v26
	v_add_f32_e32 v60, v28, v60
	v_mov_b32_e32 v28, v27
	v_add_f32_e32 v59, v26, v59
	v_fmac_f32_e32 v27, 0xbe3c28d5, v10
	v_mul_f32_e32 v26, 0x3f2c7751, v11
	v_add_f32_e32 v62, v27, v62
	v_mov_b32_e32 v27, v26
	v_fma_f32 v26, v6, s6, -v26
	v_mul_f32_e32 v11, 0xbf763a35, v11
	v_fmac_f32_e32 v27, 0x3f3d2fb0, v6
	v_add_f32_e32 v64, v26, v64
	v_mov_b32_e32 v26, v11
	v_add_f32_e32 v65, v27, v65
	v_mul_f32_e32 v27, 0x3f3d2fb0, v7
	v_fmac_f32_e32 v26, 0xbe8c1d8e, v6
	v_mul_f32_e32 v7, 0xbe8c1d8e, v7
	v_fmac_f32_e32 v25, 0xbf1a4643, v6
	v_fmac_f32_e32 v28, 0x3e3c28d5, v10
	v_add_f32_e32 v70, v26, v70
	v_mov_b32_e32 v26, v7
	v_fma_f32 v6, v6, s7, -v11
	v_fmac_f32_e32 v7, 0xbf763a35, v10
	v_add_f32_e32 v123, v2, v9
	v_sub_f32_e32 v125, v2, v9
	v_add_f32_e32 v63, v28, v63
	v_mov_b32_e32 v28, v27
	v_add_f32_e32 v79, v6, v4
	v_add_f32_e32 v121, v7, v5
	;; [unrolled: 1-line block ×3, first 2 shown]
	v_sub_f32_e32 v124, v8, v3
	v_mul_f32_e32 v4, 0xbe3c28d5, v125
	v_mul_f32_e32 v5, 0xbf7ba420, v123
	v_fmac_f32_e32 v28, 0xbf2c7751, v10
	v_mov_b32_e32 v2, v4
	v_mov_b32_e32 v3, v5
	v_fma_f32 v4, v122, s15, -v4
	v_fmac_f32_e32 v5, 0xbe3c28d5, v124
	v_mul_f32_e32 v6, 0x3eb8f4ab, v125
	v_mul_f32_e32 v7, 0x3f6eb680, v123
	v_add_f32_e32 v25, v25, v29
	v_add_f32_e32 v67, v28, v67
	v_fmac_f32_e32 v27, 0x3f2c7751, v10
	v_fmac_f32_e32 v26, 0x3f763a35, v10
	v_add_f32_e32 v28, v4, v12
	v_add_f32_e32 v29, v5, v14
	v_mov_b32_e32 v4, v6
	v_mov_b32_e32 v5, v7
	v_fma_f32 v6, v122, s12, -v6
	v_fmac_f32_e32 v7, 0x3eb8f4ab, v124
	v_mul_f32_e32 v8, 0xbf06c442, v125
	v_mul_f32_e32 v9, 0xbf59a7d5, v123
	v_add_f32_e32 v66, v27, v66
	v_add_f32_e32 v71, v26, v71
	v_fmac_f32_e32 v2, 0xbf7ba420, v122
	v_add_f32_e32 v26, v6, v15
	v_add_f32_e32 v27, v7, v18
	v_mov_b32_e32 v6, v8
	v_mov_b32_e32 v7, v9
	v_fma_f32 v8, v122, s14, -v8
	v_fmac_f32_e32 v9, 0xbf06c442, v124
	v_mul_f32_e32 v10, 0x3f2c7751, v125
	v_mul_f32_e32 v11, 0x3f3d2fb0, v123
	v_add_f32_e32 v2, v2, v13
	v_add_f32_e32 v56, v8, v19
	;; [unrolled: 1-line block ×3, first 2 shown]
	v_mov_b32_e32 v8, v10
	v_mov_b32_e32 v9, v11
	v_fma_f32 v10, v122, s6, -v10
	v_fmac_f32_e32 v11, 0x3f2c7751, v124
	v_mul_f32_e32 v12, 0xbf4c4adb, v125
	v_mul_f32_e32 v13, 0xbf1a4643, v123
	v_fmac_f32_e32 v3, 0x3e3c28d5, v124
	v_fmac_f32_e32 v4, 0x3f6eb680, v122
	;; [unrolled: 1-line block ×6, first 2 shown]
	v_add_f32_e32 v30, v10, v23
	v_add_f32_e32 v31, v11, v76
	v_mov_b32_e32 v10, v12
	v_mov_b32_e32 v11, v13
	v_fma_f32 v12, v122, s13, -v12
	v_fmac_f32_e32 v13, 0xbf4c4adb, v124
	v_mul_f32_e32 v14, 0x3f65296c, v125
	v_mul_f32_e32 v15, 0x3ee437d1, v123
	;; [unrolled: 1-line block ×6, first 2 shown]
	v_add_f32_e32 v3, v3, v17
	v_add_f32_e32 v4, v4, v16
	;; [unrolled: 1-line block ×8, first 2 shown]
	v_mov_b32_e32 v12, v14
	v_mov_b32_e32 v13, v15
	;; [unrolled: 1-line block ×6, first 2 shown]
	v_fmac_f32_e32 v12, 0x3ee437d1, v122
	v_fmac_f32_e32 v13, 0xbf65296c, v124
	v_fma_f32 v14, v122, s3, -v14
	v_fmac_f32_e32 v15, 0x3f65296c, v124
	v_fmac_f32_e32 v16, 0xbe8c1d8e, v122
	v_fmac_f32_e32 v17, 0x3f763a35, v124
	v_fma_f32 v18, v122, s7, -v18
	v_fmac_f32_e32 v19, 0xbf763a35, v124
	;; [unrolled: 4-line block ×3, first 2 shown]
	v_fmac_f32_e32 v9, 0xbf2c7751, v124
	v_fmac_f32_e32 v10, 0xbf1a4643, v122
	;; [unrolled: 1-line block ×3, first 2 shown]
	v_add_f32_e32 v12, v12, v61
	v_add_f32_e32 v13, v13, v63
	;; [unrolled: 1-line block ×15, first 2 shown]
	s_barrier
	ds_write2_b64 v137, v[0:1], v[2:3] offset1:17
	ds_write2_b64 v137, v[4:5], v[6:7] offset0:34 offset1:51
	ds_write2_b64 v137, v[8:9], v[10:11] offset0:68 offset1:85
	;; [unrolled: 1-line block ×7, first 2 shown]
	ds_write_b64 v137, v[28:29] offset:2176
	s_waitcnt lgkmcnt(0)
	s_barrier
	ds_read2_b64 v[0:3], v133 offset1:102
	ds_read2_b64 v[20:23], v73 offset0:33 offset1:135
	ds_read2_b64 v[16:19], v72 offset0:66 offset1:168
	;; [unrolled: 1-line block ×3, first 2 shown]
	v_add_u32_e32 v4, 0x2000, v133
	ds_read2_b64 v[8:11], v4 offset0:132 offset1:234
	v_add_u32_e32 v4, 0x2c00, v133
	ds_read2_b64 v[4:7], v4 offset0:37 offset1:139
	s_and_saveexec_b64 s[2:3], s[0:1]
	s_cbranch_execz .LBB0_7
; %bb.6:
	ds_read_b64 v[24:25], v133 offset:1632
	ds_read_b64 v[30:31], v133 offset:3944
	;; [unrolled: 1-line block ×6, first 2 shown]
.LBB0_7:
	s_or_b64 exec, exec, s[2:3]
	s_waitcnt lgkmcnt(4)
	v_mul_f32_e32 v58, v45, v21
	v_fmac_f32_e32 v58, v44, v20
	v_mul_f32_e32 v20, v45, v20
	v_fma_f32 v20, v44, v21, -v20
	s_waitcnt lgkmcnt(3)
	v_mul_f32_e32 v21, v47, v17
	v_fmac_f32_e32 v21, v46, v16
	v_mul_f32_e32 v16, v47, v16
	v_fma_f32 v16, v46, v17, -v16
	;; [unrolled: 5-line block ×5, first 2 shown]
	v_mul_f32_e32 v40, v53, v23
	v_mul_f32_e32 v5, v53, v22
	v_fmac_f32_e32 v40, v52, v22
	v_fma_f32 v22, v52, v23, -v5
	v_mul_f32_e32 v23, v55, v19
	v_mul_f32_e32 v5, v55, v18
	v_fmac_f32_e32 v23, v54, v18
	v_fma_f32 v18, v54, v19, -v5
	;; [unrolled: 4-line block ×3, first 2 shown]
	v_mul_f32_e32 v5, v51, v10
	v_fma_f32 v41, v50, v11, -v5
	v_mul_f32_e32 v5, v120, v6
	v_mul_f32_e32 v15, v51, v11
	v_fma_f32 v43, v119, v7, -v5
	v_add_f32_e32 v5, v0, v21
	v_fmac_f32_e32 v15, v50, v10
	v_add_f32_e32 v10, v5, v13
	v_add_f32_e32 v5, v21, v13
	v_fma_f32 v11, -0.5, v5, v0
	v_sub_f32_e32 v0, v16, v8
	v_mov_b32_e32 v44, v11
	v_fmac_f32_e32 v44, 0xbf5db3d7, v0
	v_fmac_f32_e32 v11, 0x3f5db3d7, v0
	v_add_f32_e32 v0, v1, v16
	v_add_f32_e32 v45, v0, v8
	v_add_f32_e32 v0, v16, v8
	v_fma_f32 v16, -0.5, v0, v1
	v_sub_f32_e32 v0, v21, v13
	v_mov_b32_e32 v13, v16
	v_fmac_f32_e32 v13, 0x3f5db3d7, v0
	v_fmac_f32_e32 v16, 0xbf5db3d7, v0
	v_add_f32_e32 v0, v58, v17
	v_add_f32_e32 v8, v0, v9
	;; [unrolled: 1-line block ×3, first 2 shown]
	v_fmac_f32_e32 v58, -0.5, v0
	v_sub_f32_e32 v0, v12, v4
	v_mov_b32_e32 v5, v58
	v_fmac_f32_e32 v5, 0xbf5db3d7, v0
	v_fmac_f32_e32 v58, 0x3f5db3d7, v0
	v_add_f32_e32 v0, v20, v12
	v_add_f32_e32 v21, v0, v4
	;; [unrolled: 1-line block ×3, first 2 shown]
	v_fmac_f32_e32 v20, -0.5, v0
	v_mul_f32_e32 v42, v120, v7
	v_sub_f32_e32 v0, v17, v9
	v_mov_b32_e32 v7, v20
	v_fmac_f32_e32 v7, 0x3f5db3d7, v0
	v_fmac_f32_e32 v20, 0xbf5db3d7, v0
	v_mul_f32_e32 v12, 0xbf5db3d7, v20
	v_mul_f32_e32 v17, 0.5, v7
	v_mul_f32_e32 v20, -0.5, v20
	v_mul_f32_e32 v9, 0xbf5db3d7, v7
	v_fmac_f32_e32 v12, -0.5, v58
	v_fmac_f32_e32 v17, 0x3f5db3d7, v5
	v_fmac_f32_e32 v20, 0x3f5db3d7, v58
	;; [unrolled: 1-line block ×3, first 2 shown]
	v_fmac_f32_e32 v9, 0.5, v5
	v_add_f32_e32 v6, v11, v12
	v_add_f32_e32 v5, v13, v17
	;; [unrolled: 1-line block ×3, first 2 shown]
	v_sub_f32_e32 v12, v11, v12
	v_sub_f32_e32 v11, v13, v17
	;; [unrolled: 1-line block ×3, first 2 shown]
	v_add_f32_e32 v16, v2, v23
	v_add_f32_e32 v20, v16, v15
	;; [unrolled: 1-line block ×3, first 2 shown]
	v_fma_f32 v2, -0.5, v16, v2
	v_add_f32_e32 v0, v10, v8
	v_add_f32_e32 v4, v44, v9
	;; [unrolled: 1-line block ×3, first 2 shown]
	v_sub_f32_e32 v8, v10, v8
	v_sub_f32_e32 v10, v44, v9
	;; [unrolled: 1-line block ×4, first 2 shown]
	v_mov_b32_e32 v21, v2
	v_fmac_f32_e32 v21, 0xbf5db3d7, v16
	v_fmac_f32_e32 v2, 0x3f5db3d7, v16
	v_add_f32_e32 v16, v3, v18
	v_add_f32_e32 v44, v16, v41
	;; [unrolled: 1-line block ×3, first 2 shown]
	v_fmac_f32_e32 v3, -0.5, v16
	v_sub_f32_e32 v15, v23, v15
	v_mov_b32_e32 v23, v3
	v_fmac_f32_e32 v23, 0x3f5db3d7, v15
	v_fmac_f32_e32 v3, 0xbf5db3d7, v15
	v_add_f32_e32 v15, v40, v19
	v_add_f32_e32 v41, v15, v42
	;; [unrolled: 1-line block ×3, first 2 shown]
	v_fmac_f32_e32 v40, -0.5, v15
	v_sub_f32_e32 v15, v14, v43
	v_mov_b32_e32 v17, v40
	v_fmac_f32_e32 v17, 0xbf5db3d7, v15
	v_fmac_f32_e32 v40, 0x3f5db3d7, v15
	v_add_f32_e32 v15, v22, v14
	v_add_f32_e32 v14, v14, v43
	v_fmac_f32_e32 v22, -0.5, v14
	v_sub_f32_e32 v14, v19, v42
	v_mov_b32_e32 v19, v22
	v_fmac_f32_e32 v19, 0x3f5db3d7, v14
	v_fmac_f32_e32 v22, 0xbf5db3d7, v14
	v_add_f32_e32 v45, v15, v43
	v_mul_f32_e32 v42, 0xbf5db3d7, v19
	v_mul_f32_e32 v43, 0xbf5db3d7, v22
	v_mul_f32_e32 v46, 0.5, v19
	v_mul_f32_e32 v47, -0.5, v22
	v_fmac_f32_e32 v42, 0.5, v17
	v_fmac_f32_e32 v43, -0.5, v40
	v_fmac_f32_e32 v46, 0x3f5db3d7, v17
	v_fmac_f32_e32 v47, 0x3f5db3d7, v40
	v_add_f32_e32 v14, v20, v41
	v_add_f32_e32 v16, v21, v42
	;; [unrolled: 1-line block ×6, first 2 shown]
	v_sub_f32_e32 v20, v20, v41
	v_sub_f32_e32 v22, v21, v42
	;; [unrolled: 1-line block ×6, first 2 shown]
	ds_write_b64 v133, v[4:5] offset:2312
	ds_write_b64 v133, v[6:7] offset:4624
	;; [unrolled: 1-line block ×5, first 2 shown]
	ds_write2_b64 v133, v[0:1], v[14:15] offset1:102
	ds_write_b64 v133, v[16:17] offset:3128
	ds_write_b64 v133, v[18:19] offset:5440
	;; [unrolled: 1-line block ×5, first 2 shown]
	s_and_saveexec_b64 s[2:3], s[0:1]
	s_cbranch_execz .LBB0_9
; %bb.8:
	v_mul_f32_e32 v0, v35, v56
	v_mul_f32_e32 v1, v39, v28
	v_fma_f32 v0, v34, v57, -v0
	v_fma_f32 v2, v38, v29, -v1
	v_mul_f32_e32 v10, v37, v27
	v_mul_f32_e32 v11, v116, v69
	v_add_f32_e32 v1, v0, v2
	v_mul_f32_e32 v9, v33, v31
	v_fmac_f32_e32 v10, v36, v26
	v_fmac_f32_e32 v11, v115, v68
	v_fma_f32 v6, -0.5, v1, v25
	v_fmac_f32_e32 v9, v32, v30
	v_add_f32_e32 v1, v10, v11
	v_fma_f32 v12, -0.5, v1, v9
	v_mul_f32_e32 v1, v37, v26
	v_fma_f32 v5, v36, v27, -v1
	v_mul_f32_e32 v1, v116, v68
	v_fma_f32 v13, v115, v69, -v1
	;; [unrolled: 2-line block ×3, first 2 shown]
	v_add_f32_e32 v1, v5, v13
	v_fma_f32 v17, -0.5, v1, v16
	v_sub_f32_e32 v18, v10, v11
	v_mov_b32_e32 v19, v17
	v_mul_f32_e32 v4, v35, v57
	v_mul_f32_e32 v7, v39, v29
	v_sub_f32_e32 v14, v5, v13
	v_mov_b32_e32 v15, v12
	v_fmac_f32_e32 v19, 0xbf5db3d7, v18
	v_fmac_f32_e32 v4, v34, v56
	;; [unrolled: 1-line block ×4, first 2 shown]
	v_mul_f32_e32 v20, -0.5, v19
	v_fmac_f32_e32 v17, 0x3f5db3d7, v18
	v_mul_f32_e32 v19, 0xbf5db3d7, v19
	v_sub_f32_e32 v3, v4, v7
	v_fmac_f32_e32 v20, 0x3f5db3d7, v15
	v_fmac_f32_e32 v12, 0xbf5db3d7, v14
	v_mul_f32_e32 v14, 0.5, v17
	v_add_f32_e32 v5, v16, v5
	v_add_f32_e32 v16, v4, v7
	v_fmac_f32_e32 v19, -0.5, v15
	v_mul_f32_e32 v15, 0xbf5db3d7, v17
	v_add_f32_e32 v4, v24, v4
	v_fmac_f32_e32 v14, 0x3f5db3d7, v12
	v_add_f32_e32 v18, v25, v0
	v_fma_f32 v16, -0.5, v16, v24
	v_fmac_f32_e32 v15, 0.5, v12
	v_add_f32_e32 v12, v4, v7
	v_add_f32_e32 v4, v9, v10
	v_mov_b32_e32 v8, v6
	v_add_f32_e32 v18, v18, v2
	v_add_f32_e32 v13, v5, v13
	v_sub_f32_e32 v2, v0, v2
	v_mov_b32_e32 v21, v16
	v_add_f32_e32 v10, v4, v11
	v_fmac_f32_e32 v8, 0xbf5db3d7, v3
	v_fmac_f32_e32 v6, 0x3f5db3d7, v3
	;; [unrolled: 1-line block ×4, first 2 shown]
	v_sub_f32_e32 v4, v12, v10
	v_add_f32_e32 v11, v18, v13
	v_add_f32_e32 v10, v12, v10
	v_sub_f32_e32 v1, v8, v20
	v_sub_f32_e32 v3, v6, v14
	v_sub_f32_e32 v5, v18, v13
	v_sub_f32_e32 v0, v21, v19
	v_sub_f32_e32 v2, v16, v15
	v_add_f32_e32 v7, v8, v20
	v_add_f32_e32 v9, v6, v14
	;; [unrolled: 1-line block ×4, first 2 shown]
	ds_write_b64 v133, v[10:11] offset:1632
	ds_write_b64 v133, v[8:9] offset:3944
	;; [unrolled: 1-line block ×6, first 2 shown]
.LBB0_9:
	s_or_b64 exec, exec, s[2:3]
	s_waitcnt lgkmcnt(0)
	s_barrier
	ds_read2_b64 v[0:3], v133 offset1:102
	v_mad_u64_u32 v[4:5], s[0:1], s10, v98, 0
	s_mov_b32 s0, 0x8b5e3104
	s_mov_b32 s1, 0x3f42e5b8
	s_waitcnt lgkmcnt(0)
	v_mul_f32_e32 v6, v114, v1
	v_fmac_f32_e32 v6, v113, v0
	v_cvt_f64_f32_e32 v[6:7], v6
	v_mul_f32_e32 v0, v114, v0
	v_fma_f32 v0, v113, v1, -v0
	v_cvt_f64_f32_e32 v[0:1], v0
	v_mul_f64 v[6:7], v[6:7], s[0:1]
	v_mad_u64_u32 v[8:9], s[2:3], s8, v134, 0
	v_mul_f64 v[0:1], v[0:1], s[0:1]
	v_mad_u64_u32 v[10:11], s[2:3], s11, v98, v[5:6]
	v_mov_b32_e32 v5, v9
	v_mad_u64_u32 v[11:12], s[2:3], s9, v134, v[5:6]
	v_mov_b32_e32 v5, v10
	v_cvt_f32_f64_e32 v6, v[6:7]
	v_cvt_f32_f64_e32 v7, v[0:1]
	v_lshlrev_b64 v[0:1], 3, v[4:5]
	v_mul_f32_e32 v4, v112, v3
	v_fmac_f32_e32 v4, v111, v2
	v_mul_f32_e32 v2, v112, v2
	v_fma_f32 v2, v111, v3, -v2
	v_mov_b32_e32 v9, v11
	v_mov_b32_e32 v10, s5
	v_cvt_f64_f32_e32 v[2:3], v2
	v_add_co_u32_e32 v11, vcc, s4, v0
	v_addc_co_u32_e32 v12, vcc, v10, v1, vcc
	v_lshlrev_b64 v[0:1], 3, v[8:9]
	v_mul_f64 v[8:9], v[2:3], s[0:1]
	v_add_co_u32_e32 v10, vcc, v11, v0
	v_add_u32_e32 v0, 0x400, v133
	v_addc_co_u32_e32 v11, vcc, v12, v1, vcc
	ds_read2_b64 v[0:3], v0 offset0:76 offset1:178
	v_cvt_f64_f32_e32 v[4:5], v4
	global_store_dwordx2 v[10:11], v[6:7], off
	s_mul_i32 s2, s9, 0x330
	s_mul_hi_u32 s3, s8, 0x330
	s_waitcnt lgkmcnt(0)
	v_mul_f32_e32 v6, v110, v1
	v_fmac_f32_e32 v6, v109, v0
	v_mul_f32_e32 v0, v110, v0
	v_fma_f32 v0, v109, v1, -v0
	v_mul_f64 v[4:5], v[4:5], s[0:1]
	v_cvt_f64_f32_e32 v[0:1], v0
	v_cvt_f64_f32_e32 v[6:7], v6
	s_add_i32 s2, s3, s2
	s_mul_i32 s3, s8, 0x330
	v_mul_f64 v[0:1], v[0:1], s[0:1]
	v_mul_f64 v[6:7], v[6:7], s[0:1]
	v_mov_b32_e32 v12, s2
	v_cvt_f32_f64_e32 v4, v[4:5]
	v_cvt_f32_f64_e32 v5, v[8:9]
	v_mov_b32_e32 v9, s2
	v_add_co_u32_e32 v8, vcc, s3, v10
	v_addc_co_u32_e32 v9, vcc, v11, v9, vcc
	global_store_dwordx2 v[8:9], v[4:5], off
	v_cvt_f32_f64_e32 v5, v[0:1]
	v_mul_f32_e32 v0, v104, v3
	v_fmac_f32_e32 v0, v103, v2
	v_cvt_f32_f64_e32 v4, v[6:7]
	v_cvt_f64_f32_e32 v[6:7], v0
	v_mul_f32_e32 v0, v104, v2
	v_fma_f32 v0, v103, v3, -v0
	v_cvt_f64_f32_e32 v[10:11], v0
	v_add_u32_e32 v0, 0x800, v133
	ds_read2_b64 v[0:3], v0 offset0:152 offset1:254
	v_add_co_u32_e32 v8, vcc, s3, v8
	v_addc_co_u32_e32 v9, vcc, v9, v12, vcc
	global_store_dwordx2 v[8:9], v[4:5], off
	v_mul_f64 v[4:5], v[6:7], s[0:1]
	v_mul_f64 v[6:7], v[10:11], s[0:1]
	s_waitcnt lgkmcnt(0)
	v_mul_f32_e32 v10, v106, v1
	v_fmac_f32_e32 v10, v105, v0
	v_mul_f32_e32 v0, v106, v0
	v_fma_f32 v0, v105, v1, -v0
	v_cvt_f64_f32_e32 v[0:1], v0
	v_cvt_f64_f32_e32 v[10:11], v10
	v_cvt_f32_f64_e32 v4, v[4:5]
	v_cvt_f32_f64_e32 v5, v[6:7]
	v_mul_f64 v[0:1], v[0:1], s[0:1]
	v_mul_f64 v[6:7], v[10:11], s[0:1]
	v_mov_b32_e32 v10, s2
	v_add_co_u32_e32 v8, vcc, s3, v8
	v_addc_co_u32_e32 v9, vcc, v9, v10, vcc
	global_store_dwordx2 v[8:9], v[4:5], off
	v_cvt_f32_f64_e32 v5, v[0:1]
	v_mul_f32_e32 v0, v100, v3
	v_fmac_f32_e32 v0, v99, v2
	v_cvt_f32_f64_e32 v4, v[6:7]
	v_cvt_f64_f32_e32 v[6:7], v0
	v_mul_f32_e32 v0, v100, v2
	v_fma_f32 v0, v99, v3, -v0
	v_cvt_f64_f32_e32 v[10:11], v0
	v_add_u32_e32 v0, 0x1000, v133
	ds_read2_b64 v[0:3], v0 offset0:100 offset1:202
	v_add_co_u32_e32 v8, vcc, s3, v8
	v_addc_co_u32_e32 v9, vcc, v9, v12, vcc
	global_store_dwordx2 v[8:9], v[4:5], off
	v_mul_f64 v[4:5], v[6:7], s[0:1]
	v_mul_f64 v[6:7], v[10:11], s[0:1]
	s_waitcnt lgkmcnt(0)
	v_mul_f32_e32 v10, v108, v1
	v_fmac_f32_e32 v10, v107, v0
	v_mul_f32_e32 v0, v108, v0
	v_fma_f32 v0, v107, v1, -v0
	v_cvt_f64_f32_e32 v[0:1], v0
	v_cvt_f64_f32_e32 v[10:11], v10
	v_cvt_f32_f64_e32 v4, v[4:5]
	v_cvt_f32_f64_e32 v5, v[6:7]
	v_mul_f64 v[0:1], v[0:1], s[0:1]
	v_mul_f64 v[6:7], v[10:11], s[0:1]
	;; [unrolled: 30-line block ×6, first 2 shown]
	v_mov_b32_e32 v10, s2
	v_add_co_u32_e32 v8, vcc, s3, v8
	v_addc_co_u32_e32 v9, vcc, v9, v10, vcc
	global_store_dwordx2 v[8:9], v[4:5], off
	v_cvt_f32_f64_e32 v5, v[0:1]
	v_mul_f32_e32 v0, v83, v3
	v_fmac_f32_e32 v0, v82, v2
	v_mul_f32_e32 v2, v83, v2
	v_fma_f32 v2, v82, v3, -v2
	v_cvt_f32_f64_e32 v4, v[6:7]
	v_cvt_f64_f32_e32 v[0:1], v0
	v_cvt_f64_f32_e32 v[2:3], v2
	ds_read_b64 v[6:7], v133 offset:13056
	v_add_co_u32_e32 v8, vcc, s3, v8
	v_addc_co_u32_e32 v9, vcc, v9, v10, vcc
	v_mul_f64 v[0:1], v[0:1], s[0:1]
	v_mul_f64 v[2:3], v[2:3], s[0:1]
	global_store_dwordx2 v[8:9], v[4:5], off
	s_waitcnt lgkmcnt(0)
	v_mul_f32_e32 v4, v81, v7
	v_fmac_f32_e32 v4, v80, v6
	v_mul_f32_e32 v6, v81, v6
	v_fma_f32 v6, v80, v7, -v6
	v_cvt_f64_f32_e32 v[4:5], v4
	v_cvt_f64_f32_e32 v[6:7], v6
	v_cvt_f32_f64_e32 v0, v[0:1]
	v_cvt_f32_f64_e32 v1, v[2:3]
	v_mul_f64 v[2:3], v[4:5], s[0:1]
	v_mul_f64 v[4:5], v[6:7], s[0:1]
	v_mov_b32_e32 v7, s2
	v_add_co_u32_e32 v6, vcc, s3, v8
	v_addc_co_u32_e32 v7, vcc, v9, v7, vcc
	global_store_dwordx2 v[6:7], v[0:1], off
	v_cvt_f32_f64_e32 v0, v[2:3]
	v_cvt_f32_f64_e32 v1, v[4:5]
	v_mov_b32_e32 v3, s2
	v_add_co_u32_e32 v2, vcc, s3, v6
	v_addc_co_u32_e32 v3, vcc, v7, v3, vcc
	global_store_dwordx2 v[2:3], v[0:1], off
.LBB0_10:
	s_endpgm
	.section	.rodata,"a",@progbits
	.p2align	6, 0x0
	.amdhsa_kernel bluestein_single_back_len1734_dim1_sp_op_CI_CI
		.amdhsa_group_segment_fixed_size 13872
		.amdhsa_private_segment_fixed_size 0
		.amdhsa_kernarg_size 104
		.amdhsa_user_sgpr_count 6
		.amdhsa_user_sgpr_private_segment_buffer 1
		.amdhsa_user_sgpr_dispatch_ptr 0
		.amdhsa_user_sgpr_queue_ptr 0
		.amdhsa_user_sgpr_kernarg_segment_ptr 1
		.amdhsa_user_sgpr_dispatch_id 0
		.amdhsa_user_sgpr_flat_scratch_init 0
		.amdhsa_user_sgpr_private_segment_size 0
		.amdhsa_uses_dynamic_stack 0
		.amdhsa_system_sgpr_private_segment_wavefront_offset 0
		.amdhsa_system_sgpr_workgroup_id_x 1
		.amdhsa_system_sgpr_workgroup_id_y 0
		.amdhsa_system_sgpr_workgroup_id_z 0
		.amdhsa_system_sgpr_workgroup_info 0
		.amdhsa_system_vgpr_workitem_id 0
		.amdhsa_next_free_vgpr 176
		.amdhsa_next_free_sgpr 20
		.amdhsa_reserve_vcc 1
		.amdhsa_reserve_flat_scratch 0
		.amdhsa_float_round_mode_32 0
		.amdhsa_float_round_mode_16_64 0
		.amdhsa_float_denorm_mode_32 3
		.amdhsa_float_denorm_mode_16_64 3
		.amdhsa_dx10_clamp 1
		.amdhsa_ieee_mode 1
		.amdhsa_fp16_overflow 0
		.amdhsa_exception_fp_ieee_invalid_op 0
		.amdhsa_exception_fp_denorm_src 0
		.amdhsa_exception_fp_ieee_div_zero 0
		.amdhsa_exception_fp_ieee_overflow 0
		.amdhsa_exception_fp_ieee_underflow 0
		.amdhsa_exception_fp_ieee_inexact 0
		.amdhsa_exception_int_div_zero 0
	.end_amdhsa_kernel
	.text
.Lfunc_end0:
	.size	bluestein_single_back_len1734_dim1_sp_op_CI_CI, .Lfunc_end0-bluestein_single_back_len1734_dim1_sp_op_CI_CI
                                        ; -- End function
	.section	.AMDGPU.csdata,"",@progbits
; Kernel info:
; codeLenInByte = 27292
; NumSgprs: 24
; NumVgprs: 176
; ScratchSize: 0
; MemoryBound: 0
; FloatMode: 240
; IeeeMode: 1
; LDSByteSize: 13872 bytes/workgroup (compile time only)
; SGPRBlocks: 2
; VGPRBlocks: 43
; NumSGPRsForWavesPerEU: 24
; NumVGPRsForWavesPerEU: 176
; Occupancy: 1
; WaveLimiterHint : 1
; COMPUTE_PGM_RSRC2:SCRATCH_EN: 0
; COMPUTE_PGM_RSRC2:USER_SGPR: 6
; COMPUTE_PGM_RSRC2:TRAP_HANDLER: 0
; COMPUTE_PGM_RSRC2:TGID_X_EN: 1
; COMPUTE_PGM_RSRC2:TGID_Y_EN: 0
; COMPUTE_PGM_RSRC2:TGID_Z_EN: 0
; COMPUTE_PGM_RSRC2:TIDIG_COMP_CNT: 0
	.type	__hip_cuid_94a029d9caa77a5b,@object ; @__hip_cuid_94a029d9caa77a5b
	.section	.bss,"aw",@nobits
	.globl	__hip_cuid_94a029d9caa77a5b
__hip_cuid_94a029d9caa77a5b:
	.byte	0                               ; 0x0
	.size	__hip_cuid_94a029d9caa77a5b, 1

	.ident	"AMD clang version 19.0.0git (https://github.com/RadeonOpenCompute/llvm-project roc-6.4.0 25133 c7fe45cf4b819c5991fe208aaa96edf142730f1d)"
	.section	".note.GNU-stack","",@progbits
	.addrsig
	.addrsig_sym __hip_cuid_94a029d9caa77a5b
	.amdgpu_metadata
---
amdhsa.kernels:
  - .args:
      - .actual_access:  read_only
        .address_space:  global
        .offset:         0
        .size:           8
        .value_kind:     global_buffer
      - .actual_access:  read_only
        .address_space:  global
        .offset:         8
        .size:           8
        .value_kind:     global_buffer
      - .actual_access:  read_only
        .address_space:  global
        .offset:         16
        .size:           8
        .value_kind:     global_buffer
      - .actual_access:  read_only
        .address_space:  global
        .offset:         24
        .size:           8
        .value_kind:     global_buffer
      - .actual_access:  read_only
        .address_space:  global
        .offset:         32
        .size:           8
        .value_kind:     global_buffer
      - .offset:         40
        .size:           8
        .value_kind:     by_value
      - .address_space:  global
        .offset:         48
        .size:           8
        .value_kind:     global_buffer
      - .address_space:  global
        .offset:         56
        .size:           8
        .value_kind:     global_buffer
      - .address_space:  global
        .offset:         64
        .size:           8
        .value_kind:     global_buffer
      - .address_space:  global
        .offset:         72
        .size:           8
        .value_kind:     global_buffer
      - .offset:         80
        .size:           4
        .value_kind:     by_value
      - .address_space:  global
        .offset:         88
        .size:           8
        .value_kind:     global_buffer
      - .address_space:  global
        .offset:         96
        .size:           8
        .value_kind:     global_buffer
    .group_segment_fixed_size: 13872
    .kernarg_segment_align: 8
    .kernarg_segment_size: 104
    .language:       OpenCL C
    .language_version:
      - 2
      - 0
    .max_flat_workgroup_size: 102
    .name:           bluestein_single_back_len1734_dim1_sp_op_CI_CI
    .private_segment_fixed_size: 0
    .sgpr_count:     24
    .sgpr_spill_count: 0
    .symbol:         bluestein_single_back_len1734_dim1_sp_op_CI_CI.kd
    .uniform_work_group_size: 1
    .uses_dynamic_stack: false
    .vgpr_count:     176
    .vgpr_spill_count: 0
    .wavefront_size: 64
amdhsa.target:   amdgcn-amd-amdhsa--gfx906
amdhsa.version:
  - 1
  - 2
...

	.end_amdgpu_metadata
